;; amdgpu-corpus repo=ROCm/rccl kind=compiled arch=gfx1100 opt=O3
	.text
	.amdgcn_target "amdgcn-amd-amdhsa--gfx1100"
	.amdhsa_code_object_version 6
	.p2align	2                               ; -- Begin function __ockl_fprintf_append_string_n
	.type	__ockl_fprintf_append_string_n,@function
__ockl_fprintf_append_string_n:         ; @__ockl_fprintf_append_string_n
; %bb.0:
	s_waitcnt vmcnt(0) expcnt(0) lgkmcnt(0)
	v_dual_mov_b32 v8, v3 :: v_dual_mov_b32 v7, v2
	v_or_b32_e32 v2, 2, v0
	v_cmp_eq_u32_e32 vcc_lo, 0, v6
	v_mbcnt_lo_u32_b32 v33, -1, 0
	s_mov_b32 s11, 0
	s_mov_b32 s0, exec_lo
	v_cndmask_b32_e32 v0, v2, v0, vcc_lo
	v_cmpx_ne_u64_e32 0, v[7:8]
	s_xor_b32 s10, exec_lo, s0
	s_cbranch_execz .LBB0_86
; %bb.1:
	s_load_b64 s[2:3], s[8:9], 0x50
	v_dual_mov_b32 v11, 2 :: v_dual_and_b32 v6, 2, v0
	v_mov_b32_e32 v10, 0
	v_and_b32_e32 v0, -3, v0
	v_mov_b32_e32 v12, 1
	s_mov_b32 s12, 0
	s_branch .LBB0_3
.LBB0_2:                                ;   in Loop: Header=BB0_3 Depth=1
	s_or_b32 exec_lo, exec_lo, s1
	v_sub_co_u32 v4, vcc_lo, v4, v29
	v_sub_co_ci_u32_e32 v5, vcc_lo, v5, v30, vcc_lo
	v_add_co_u32 v7, s0, v7, v29
	s_delay_alu instid0(VALU_DEP_1) | instskip(NEXT) | instid1(VALU_DEP_3)
	v_add_co_ci_u32_e64 v8, s0, v8, v30, s0
	v_cmp_eq_u64_e32 vcc_lo, 0, v[4:5]
	s_or_b32 s12, vcc_lo, s12
	s_delay_alu instid0(SALU_CYCLE_1)
	s_and_not1_b32 exec_lo, exec_lo, s12
	s_cbranch_execz .LBB0_85
.LBB0_3:                                ; =>This Loop Header: Depth=1
                                        ;     Child Loop BB0_6 Depth 2
                                        ;     Child Loop BB0_14 Depth 2
	;; [unrolled: 1-line block ×11, first 2 shown]
	v_cmp_gt_u64_e32 vcc_lo, 56, v[4:5]
	s_mov_b32 s1, exec_lo
                                        ; implicit-def: $vgpr2_vgpr3
                                        ; implicit-def: $sgpr4
	v_dual_cndmask_b32 v30, 0, v5 :: v_dual_cndmask_b32 v29, 56, v4
	v_cmpx_gt_u64_e32 8, v[4:5]
	s_xor_b32 s1, exec_lo, s1
	s_cbranch_execz .LBB0_9
; %bb.4:                                ;   in Loop: Header=BB0_3 Depth=1
	s_waitcnt vmcnt(0)
	v_mov_b32_e32 v2, 0
	v_mov_b32_e32 v3, 0
	s_mov_b64 s[4:5], 0
	s_mov_b32 s6, exec_lo
	v_cmpx_ne_u64_e32 0, v[4:5]
	s_cbranch_execz .LBB0_8
; %bb.5:                                ;   in Loop: Header=BB0_3 Depth=1
	v_lshlrev_b64 v[13:14], 3, v[29:30]
	v_dual_mov_b32 v2, 0 :: v_dual_mov_b32 v15, v8
	v_dual_mov_b32 v3, 0 :: v_dual_mov_b32 v14, v7
	s_mov_b32 s7, 0
	.p2align	6
.LBB0_6:                                ;   Parent Loop BB0_3 Depth=1
                                        ; =>  This Inner Loop Header: Depth=2
	flat_load_u8 v9, v[14:15]
	v_mov_b32_e32 v17, s11
	v_add_co_u32 v14, vcc_lo, v14, 1
	v_add_co_ci_u32_e32 v15, vcc_lo, 0, v15, vcc_lo
	s_waitcnt vmcnt(0) lgkmcnt(0)
	v_and_b32_e32 v16, 0xffff, v9
	s_delay_alu instid0(VALU_DEP_1) | instskip(SKIP_3) | instid1(VALU_DEP_2)
	v_lshlrev_b64 v[16:17], s4, v[16:17]
	s_add_u32 s4, s4, 8
	s_addc_u32 s5, s5, 0
	v_cmp_eq_u32_e64 s0, s4, v13
	v_or_b32_e32 v3, v17, v3
	s_delay_alu instid0(VALU_DEP_3) | instskip(NEXT) | instid1(VALU_DEP_3)
	v_or_b32_e32 v2, v16, v2
	s_or_b32 s7, s0, s7
	s_delay_alu instid0(SALU_CYCLE_1)
	s_and_not1_b32 exec_lo, exec_lo, s7
	s_cbranch_execnz .LBB0_6
; %bb.7:                                ;   in Loop: Header=BB0_3 Depth=1
	s_or_b32 exec_lo, exec_lo, s7
.LBB0_8:                                ;   in Loop: Header=BB0_3 Depth=1
	s_delay_alu instid0(SALU_CYCLE_1)
	s_or_b32 exec_lo, exec_lo, s6
	s_mov_b32 s4, 0
.LBB0_9:                                ;   in Loop: Header=BB0_3 Depth=1
	s_or_saveexec_b32 s0, s1
	v_dual_mov_b32 v9, s4 :: v_dual_mov_b32 v26, v8
	v_mov_b32_e32 v25, v7
	s_xor_b32 exec_lo, exec_lo, s0
	s_cbranch_execz .LBB0_11
; %bb.10:                               ;   in Loop: Header=BB0_3 Depth=1
	s_waitcnt vmcnt(0)
	flat_load_b64 v[2:3], v[7:8]
	v_add_co_u32 v25, vcc_lo, v7, 8
	v_add_co_ci_u32_e32 v26, vcc_lo, 0, v8, vcc_lo
	s_waitcnt vmcnt(0) lgkmcnt(0)
	v_and_b32_e32 v9, 0xff, v3
	v_and_b32_e32 v13, 0xff00, v3
	;; [unrolled: 1-line block ×4, first 2 shown]
	v_or3_b32 v2, v2, 0, 0
	s_delay_alu instid0(VALU_DEP_4) | instskip(SKIP_1) | instid1(VALU_DEP_2)
	v_or_b32_e32 v13, v9, v13
	v_add_nc_u32_e32 v9, -8, v29
	v_or3_b32 v3, v13, v14, v3
.LBB0_11:                               ;   in Loop: Header=BB0_3 Depth=1
	s_or_b32 exec_lo, exec_lo, s0
                                        ; implicit-def: $vgpr13_vgpr14
                                        ; implicit-def: $sgpr1
	s_delay_alu instid0(SALU_CYCLE_1) | instskip(NEXT) | instid1(VALU_DEP_2)
	s_mov_b32 s0, exec_lo
	v_cmpx_gt_u32_e32 8, v9
	s_xor_b32 s6, exec_lo, s0
	s_cbranch_execz .LBB0_17
; %bb.12:                               ;   in Loop: Header=BB0_3 Depth=1
	v_mov_b32_e32 v13, 0
	v_mov_b32_e32 v14, 0
	s_mov_b32 s7, exec_lo
	v_cmpx_ne_u32_e32 0, v9
	s_cbranch_execz .LBB0_16
; %bb.13:                               ;   in Loop: Header=BB0_3 Depth=1
	v_mov_b32_e32 v13, 0
	v_mov_b32_e32 v14, 0
	s_mov_b64 s[0:1], 0
	s_mov_b32 s13, 0
	s_mov_b64 s[4:5], 0
	.p2align	6
.LBB0_14:                               ;   Parent Loop BB0_3 Depth=1
                                        ; =>  This Inner Loop Header: Depth=2
	s_delay_alu instid0(SALU_CYCLE_1)
	v_add_co_u32 v15, vcc_lo, v25, s4
	v_add_co_ci_u32_e32 v16, vcc_lo, s5, v26, vcc_lo
	s_add_u32 s4, s4, 1
	s_addc_u32 s5, s5, 0
	v_cmp_eq_u32_e32 vcc_lo, s4, v9
	flat_load_u8 v15, v[15:16]
	s_waitcnt vmcnt(0) lgkmcnt(0)
	v_dual_mov_b32 v16, s11 :: v_dual_and_b32 v15, 0xffff, v15
	s_delay_alu instid0(VALU_DEP_1) | instskip(SKIP_3) | instid1(VALU_DEP_1)
	v_lshlrev_b64 v[15:16], s0, v[15:16]
	s_add_u32 s0, s0, 8
	s_addc_u32 s1, s1, 0
	s_or_b32 s13, vcc_lo, s13
	v_or_b32_e32 v14, v16, v14
	s_delay_alu instid0(VALU_DEP_2)
	v_or_b32_e32 v13, v15, v13
	s_and_not1_b32 exec_lo, exec_lo, s13
	s_cbranch_execnz .LBB0_14
; %bb.15:                               ;   in Loop: Header=BB0_3 Depth=1
	s_or_b32 exec_lo, exec_lo, s13
.LBB0_16:                               ;   in Loop: Header=BB0_3 Depth=1
	s_delay_alu instid0(SALU_CYCLE_1)
	s_or_b32 exec_lo, exec_lo, s7
	s_mov_b32 s1, 0
                                        ; implicit-def: $vgpr9
.LBB0_17:                               ;   in Loop: Header=BB0_3 Depth=1
	s_or_saveexec_b32 s0, s6
	v_mov_b32_e32 v17, s1
	s_xor_b32 exec_lo, exec_lo, s0
	s_cbranch_execz .LBB0_19
; %bb.18:                               ;   in Loop: Header=BB0_3 Depth=1
	flat_load_b64 v[13:14], v[25:26]
	v_add_co_u32 v25, vcc_lo, v25, 8
	v_add_nc_u32_e32 v17, -8, v9
	v_add_co_ci_u32_e32 v26, vcc_lo, 0, v26, vcc_lo
	s_waitcnt vmcnt(0) lgkmcnt(0)
	v_and_b32_e32 v15, 0xff, v14
	v_and_b32_e32 v16, 0xff00, v14
	;; [unrolled: 1-line block ×4, first 2 shown]
	v_or3_b32 v13, v13, 0, 0
	s_delay_alu instid0(VALU_DEP_4) | instskip(NEXT) | instid1(VALU_DEP_1)
	v_or_b32_e32 v15, v15, v16
	v_or3_b32 v14, v15, v18, v14
.LBB0_19:                               ;   in Loop: Header=BB0_3 Depth=1
	s_or_b32 exec_lo, exec_lo, s0
                                        ; implicit-def: $sgpr1
	s_delay_alu instid0(SALU_CYCLE_1)
	s_mov_b32 s0, exec_lo
	v_cmpx_gt_u32_e32 8, v17
	s_xor_b32 s6, exec_lo, s0
	s_cbranch_execz .LBB0_25
; %bb.20:                               ;   in Loop: Header=BB0_3 Depth=1
	v_mov_b32_e32 v15, 0
	v_mov_b32_e32 v16, 0
	s_mov_b32 s7, exec_lo
	v_cmpx_ne_u32_e32 0, v17
	s_cbranch_execz .LBB0_24
; %bb.21:                               ;   in Loop: Header=BB0_3 Depth=1
	v_mov_b32_e32 v15, 0
	v_mov_b32_e32 v16, 0
	s_mov_b64 s[0:1], 0
	s_mov_b32 s13, 0
	s_mov_b64 s[4:5], 0
	.p2align	6
.LBB0_22:                               ;   Parent Loop BB0_3 Depth=1
                                        ; =>  This Inner Loop Header: Depth=2
	s_delay_alu instid0(SALU_CYCLE_1)
	v_add_co_u32 v18, vcc_lo, v25, s4
	v_add_co_ci_u32_e32 v19, vcc_lo, s5, v26, vcc_lo
	s_add_u32 s4, s4, 1
	s_addc_u32 s5, s5, 0
	v_cmp_eq_u32_e32 vcc_lo, s4, v17
	flat_load_u8 v9, v[18:19]
	s_waitcnt vmcnt(0) lgkmcnt(0)
	v_dual_mov_b32 v19, s11 :: v_dual_and_b32 v18, 0xffff, v9
	s_delay_alu instid0(VALU_DEP_1) | instskip(SKIP_3) | instid1(VALU_DEP_1)
	v_lshlrev_b64 v[18:19], s0, v[18:19]
	s_add_u32 s0, s0, 8
	s_addc_u32 s1, s1, 0
	s_or_b32 s13, vcc_lo, s13
	v_or_b32_e32 v16, v19, v16
	s_delay_alu instid0(VALU_DEP_2)
	v_or_b32_e32 v15, v18, v15
	s_and_not1_b32 exec_lo, exec_lo, s13
	s_cbranch_execnz .LBB0_22
; %bb.23:                               ;   in Loop: Header=BB0_3 Depth=1
	s_or_b32 exec_lo, exec_lo, s13
.LBB0_24:                               ;   in Loop: Header=BB0_3 Depth=1
	s_delay_alu instid0(SALU_CYCLE_1)
	s_or_b32 exec_lo, exec_lo, s7
	s_mov_b32 s1, 0
                                        ; implicit-def: $vgpr17
.LBB0_25:                               ;   in Loop: Header=BB0_3 Depth=1
	s_or_saveexec_b32 s0, s6
	v_mov_b32_e32 v9, s1
	s_xor_b32 exec_lo, exec_lo, s0
	s_cbranch_execz .LBB0_27
; %bb.26:                               ;   in Loop: Header=BB0_3 Depth=1
	flat_load_b64 v[15:16], v[25:26]
	v_add_co_u32 v25, vcc_lo, v25, 8
	v_add_co_ci_u32_e32 v26, vcc_lo, 0, v26, vcc_lo
	s_waitcnt vmcnt(0) lgkmcnt(0)
	v_and_b32_e32 v9, 0xff, v16
	v_and_b32_e32 v18, 0xff00, v16
	;; [unrolled: 1-line block ×4, first 2 shown]
	v_or3_b32 v15, v15, 0, 0
	s_delay_alu instid0(VALU_DEP_4) | instskip(SKIP_1) | instid1(VALU_DEP_2)
	v_or_b32_e32 v18, v9, v18
	v_add_nc_u32_e32 v9, -8, v17
	v_or3_b32 v16, v18, v19, v16
.LBB0_27:                               ;   in Loop: Header=BB0_3 Depth=1
	s_or_b32 exec_lo, exec_lo, s0
                                        ; implicit-def: $vgpr17_vgpr18
                                        ; implicit-def: $sgpr1
	s_delay_alu instid0(SALU_CYCLE_1) | instskip(NEXT) | instid1(VALU_DEP_1)
	s_mov_b32 s0, exec_lo
	v_cmpx_gt_u32_e32 8, v9
	s_xor_b32 s6, exec_lo, s0
	s_cbranch_execz .LBB0_33
; %bb.28:                               ;   in Loop: Header=BB0_3 Depth=1
	v_mov_b32_e32 v17, 0
	v_mov_b32_e32 v18, 0
	s_mov_b32 s7, exec_lo
	v_cmpx_ne_u32_e32 0, v9
	s_cbranch_execz .LBB0_32
; %bb.29:                               ;   in Loop: Header=BB0_3 Depth=1
	v_mov_b32_e32 v17, 0
	v_mov_b32_e32 v18, 0
	s_mov_b64 s[0:1], 0
	s_mov_b32 s13, 0
	s_mov_b64 s[4:5], 0
	.p2align	6
.LBB0_30:                               ;   Parent Loop BB0_3 Depth=1
                                        ; =>  This Inner Loop Header: Depth=2
	s_delay_alu instid0(SALU_CYCLE_1)
	v_add_co_u32 v19, vcc_lo, v25, s4
	v_add_co_ci_u32_e32 v20, vcc_lo, s5, v26, vcc_lo
	s_add_u32 s4, s4, 1
	s_addc_u32 s5, s5, 0
	v_cmp_eq_u32_e32 vcc_lo, s4, v9
	flat_load_u8 v19, v[19:20]
	s_waitcnt vmcnt(0) lgkmcnt(0)
	v_dual_mov_b32 v20, s11 :: v_dual_and_b32 v19, 0xffff, v19
	s_delay_alu instid0(VALU_DEP_1) | instskip(SKIP_3) | instid1(VALU_DEP_1)
	v_lshlrev_b64 v[19:20], s0, v[19:20]
	s_add_u32 s0, s0, 8
	s_addc_u32 s1, s1, 0
	s_or_b32 s13, vcc_lo, s13
	v_or_b32_e32 v18, v20, v18
	s_delay_alu instid0(VALU_DEP_2)
	v_or_b32_e32 v17, v19, v17
	s_and_not1_b32 exec_lo, exec_lo, s13
	s_cbranch_execnz .LBB0_30
; %bb.31:                               ;   in Loop: Header=BB0_3 Depth=1
	s_or_b32 exec_lo, exec_lo, s13
.LBB0_32:                               ;   in Loop: Header=BB0_3 Depth=1
	s_delay_alu instid0(SALU_CYCLE_1)
	s_or_b32 exec_lo, exec_lo, s7
	s_mov_b32 s1, 0
                                        ; implicit-def: $vgpr9
.LBB0_33:                               ;   in Loop: Header=BB0_3 Depth=1
	s_or_saveexec_b32 s0, s6
	v_mov_b32_e32 v21, s1
	s_xor_b32 exec_lo, exec_lo, s0
	s_cbranch_execz .LBB0_35
; %bb.34:                               ;   in Loop: Header=BB0_3 Depth=1
	flat_load_b64 v[17:18], v[25:26]
	v_add_co_u32 v25, vcc_lo, v25, 8
	v_add_nc_u32_e32 v21, -8, v9
	v_add_co_ci_u32_e32 v26, vcc_lo, 0, v26, vcc_lo
	s_waitcnt vmcnt(0) lgkmcnt(0)
	v_and_b32_e32 v19, 0xff, v18
	v_and_b32_e32 v20, 0xff00, v18
	;; [unrolled: 1-line block ×4, first 2 shown]
	v_or3_b32 v17, v17, 0, 0
	s_delay_alu instid0(VALU_DEP_4) | instskip(NEXT) | instid1(VALU_DEP_1)
	v_or_b32_e32 v19, v19, v20
	v_or3_b32 v18, v19, v22, v18
.LBB0_35:                               ;   in Loop: Header=BB0_3 Depth=1
	s_or_b32 exec_lo, exec_lo, s0
                                        ; implicit-def: $sgpr1
	s_delay_alu instid0(SALU_CYCLE_1)
	s_mov_b32 s0, exec_lo
	v_cmpx_gt_u32_e32 8, v21
	s_xor_b32 s6, exec_lo, s0
	s_cbranch_execz .LBB0_41
; %bb.36:                               ;   in Loop: Header=BB0_3 Depth=1
	v_mov_b32_e32 v19, 0
	v_mov_b32_e32 v20, 0
	s_mov_b32 s7, exec_lo
	v_cmpx_ne_u32_e32 0, v21
	s_cbranch_execz .LBB0_40
; %bb.37:                               ;   in Loop: Header=BB0_3 Depth=1
	v_mov_b32_e32 v19, 0
	v_mov_b32_e32 v20, 0
	s_mov_b64 s[0:1], 0
	s_mov_b32 s13, 0
	s_mov_b64 s[4:5], 0
	.p2align	6
.LBB0_38:                               ;   Parent Loop BB0_3 Depth=1
                                        ; =>  This Inner Loop Header: Depth=2
	s_delay_alu instid0(SALU_CYCLE_1)
	v_add_co_u32 v22, vcc_lo, v25, s4
	v_add_co_ci_u32_e32 v23, vcc_lo, s5, v26, vcc_lo
	s_add_u32 s4, s4, 1
	s_addc_u32 s5, s5, 0
	v_cmp_eq_u32_e32 vcc_lo, s4, v21
	flat_load_u8 v9, v[22:23]
	s_waitcnt vmcnt(0) lgkmcnt(0)
	v_dual_mov_b32 v23, s11 :: v_dual_and_b32 v22, 0xffff, v9
	s_delay_alu instid0(VALU_DEP_1) | instskip(SKIP_3) | instid1(VALU_DEP_1)
	v_lshlrev_b64 v[22:23], s0, v[22:23]
	s_add_u32 s0, s0, 8
	s_addc_u32 s1, s1, 0
	s_or_b32 s13, vcc_lo, s13
	v_or_b32_e32 v20, v23, v20
	s_delay_alu instid0(VALU_DEP_2)
	v_or_b32_e32 v19, v22, v19
	s_and_not1_b32 exec_lo, exec_lo, s13
	s_cbranch_execnz .LBB0_38
; %bb.39:                               ;   in Loop: Header=BB0_3 Depth=1
	s_or_b32 exec_lo, exec_lo, s13
.LBB0_40:                               ;   in Loop: Header=BB0_3 Depth=1
	s_delay_alu instid0(SALU_CYCLE_1)
	s_or_b32 exec_lo, exec_lo, s7
	s_mov_b32 s1, 0
                                        ; implicit-def: $vgpr21
.LBB0_41:                               ;   in Loop: Header=BB0_3 Depth=1
	s_or_saveexec_b32 s0, s6
	v_mov_b32_e32 v9, s1
	s_xor_b32 exec_lo, exec_lo, s0
	s_cbranch_execz .LBB0_43
; %bb.42:                               ;   in Loop: Header=BB0_3 Depth=1
	flat_load_b64 v[19:20], v[25:26]
	v_add_co_u32 v25, vcc_lo, v25, 8
	v_add_co_ci_u32_e32 v26, vcc_lo, 0, v26, vcc_lo
	s_waitcnt vmcnt(0) lgkmcnt(0)
	v_and_b32_e32 v9, 0xff, v20
	v_and_b32_e32 v22, 0xff00, v20
	;; [unrolled: 1-line block ×4, first 2 shown]
	v_or3_b32 v19, v19, 0, 0
	s_delay_alu instid0(VALU_DEP_4) | instskip(SKIP_1) | instid1(VALU_DEP_2)
	v_or_b32_e32 v22, v9, v22
	v_add_nc_u32_e32 v9, -8, v21
	v_or3_b32 v20, v22, v23, v20
.LBB0_43:                               ;   in Loop: Header=BB0_3 Depth=1
	s_or_b32 exec_lo, exec_lo, s0
                                        ; implicit-def: $vgpr21_vgpr22
                                        ; implicit-def: $sgpr1
	s_delay_alu instid0(SALU_CYCLE_1) | instskip(NEXT) | instid1(VALU_DEP_1)
	s_mov_b32 s0, exec_lo
	v_cmpx_gt_u32_e32 8, v9
	s_xor_b32 s6, exec_lo, s0
	s_cbranch_execz .LBB0_49
; %bb.44:                               ;   in Loop: Header=BB0_3 Depth=1
	v_mov_b32_e32 v21, 0
	v_mov_b32_e32 v22, 0
	s_mov_b32 s7, exec_lo
	v_cmpx_ne_u32_e32 0, v9
	s_cbranch_execz .LBB0_48
; %bb.45:                               ;   in Loop: Header=BB0_3 Depth=1
	v_mov_b32_e32 v21, 0
	v_mov_b32_e32 v22, 0
	s_mov_b64 s[0:1], 0
	s_mov_b32 s13, 0
	s_mov_b64 s[4:5], 0
	.p2align	6
.LBB0_46:                               ;   Parent Loop BB0_3 Depth=1
                                        ; =>  This Inner Loop Header: Depth=2
	s_delay_alu instid0(SALU_CYCLE_1)
	v_add_co_u32 v23, vcc_lo, v25, s4
	v_add_co_ci_u32_e32 v24, vcc_lo, s5, v26, vcc_lo
	s_add_u32 s4, s4, 1
	s_addc_u32 s5, s5, 0
	v_cmp_eq_u32_e32 vcc_lo, s4, v9
	flat_load_u8 v23, v[23:24]
	s_waitcnt vmcnt(0) lgkmcnt(0)
	v_dual_mov_b32 v24, s11 :: v_dual_and_b32 v23, 0xffff, v23
	s_delay_alu instid0(VALU_DEP_1) | instskip(SKIP_3) | instid1(VALU_DEP_1)
	v_lshlrev_b64 v[23:24], s0, v[23:24]
	s_add_u32 s0, s0, 8
	s_addc_u32 s1, s1, 0
	s_or_b32 s13, vcc_lo, s13
	v_or_b32_e32 v22, v24, v22
	s_delay_alu instid0(VALU_DEP_2)
	v_or_b32_e32 v21, v23, v21
	s_and_not1_b32 exec_lo, exec_lo, s13
	s_cbranch_execnz .LBB0_46
; %bb.47:                               ;   in Loop: Header=BB0_3 Depth=1
	s_or_b32 exec_lo, exec_lo, s13
.LBB0_48:                               ;   in Loop: Header=BB0_3 Depth=1
	s_delay_alu instid0(SALU_CYCLE_1)
	s_or_b32 exec_lo, exec_lo, s7
	s_mov_b32 s1, 0
                                        ; implicit-def: $vgpr9
.LBB0_49:                               ;   in Loop: Header=BB0_3 Depth=1
	s_or_saveexec_b32 s0, s6
	v_mov_b32_e32 v27, s1
	s_xor_b32 exec_lo, exec_lo, s0
	s_cbranch_execz .LBB0_51
; %bb.50:                               ;   in Loop: Header=BB0_3 Depth=1
	flat_load_b64 v[21:22], v[25:26]
	v_add_co_u32 v25, vcc_lo, v25, 8
	v_add_nc_u32_e32 v27, -8, v9
	v_add_co_ci_u32_e32 v26, vcc_lo, 0, v26, vcc_lo
	s_waitcnt vmcnt(0) lgkmcnt(0)
	v_and_b32_e32 v23, 0xff, v22
	v_and_b32_e32 v24, 0xff00, v22
	;; [unrolled: 1-line block ×4, first 2 shown]
	v_or3_b32 v21, v21, 0, 0
	s_delay_alu instid0(VALU_DEP_4) | instskip(NEXT) | instid1(VALU_DEP_1)
	v_or_b32_e32 v23, v23, v24
	v_or3_b32 v22, v23, v28, v22
.LBB0_51:                               ;   in Loop: Header=BB0_3 Depth=1
	s_or_b32 exec_lo, exec_lo, s0
	s_delay_alu instid0(SALU_CYCLE_1)
	s_mov_b32 s0, exec_lo
	v_cmpx_gt_u32_e32 8, v27
	s_xor_b32 s4, exec_lo, s0
	s_cbranch_execz .LBB0_57
; %bb.52:                               ;   in Loop: Header=BB0_3 Depth=1
	v_mov_b32_e32 v23, 0
	v_mov_b32_e32 v24, 0
	s_mov_b32 s5, exec_lo
	v_cmpx_ne_u32_e32 0, v27
	s_cbranch_execz .LBB0_56
; %bb.53:                               ;   in Loop: Header=BB0_3 Depth=1
	v_mov_b32_e32 v23, 0
	v_mov_b32_e32 v24, 0
	s_mov_b64 s[0:1], 0
	s_mov_b32 s6, 0
	.p2align	6
.LBB0_54:                               ;   Parent Loop BB0_3 Depth=1
                                        ; =>  This Inner Loop Header: Depth=2
	flat_load_u8 v9, v[25:26]
	v_dual_mov_b32 v32, s11 :: v_dual_add_nc_u32 v27, -1, v27
	v_add_co_u32 v25, vcc_lo, v25, 1
	v_add_co_ci_u32_e32 v26, vcc_lo, 0, v26, vcc_lo
	s_delay_alu instid0(VALU_DEP_3) | instskip(SKIP_2) | instid1(VALU_DEP_1)
	v_cmp_eq_u32_e32 vcc_lo, 0, v27
	s_waitcnt vmcnt(0) lgkmcnt(0)
	v_and_b32_e32 v31, 0xffff, v9
	v_lshlrev_b64 v[31:32], s0, v[31:32]
	s_add_u32 s0, s0, 8
	s_addc_u32 s1, s1, 0
	s_or_b32 s6, vcc_lo, s6
	s_delay_alu instid0(VALU_DEP_1) | instskip(NEXT) | instid1(VALU_DEP_2)
	v_or_b32_e32 v24, v32, v24
	v_or_b32_e32 v23, v31, v23
	s_and_not1_b32 exec_lo, exec_lo, s6
	s_cbranch_execnz .LBB0_54
; %bb.55:                               ;   in Loop: Header=BB0_3 Depth=1
	s_or_b32 exec_lo, exec_lo, s6
.LBB0_56:                               ;   in Loop: Header=BB0_3 Depth=1
	s_delay_alu instid0(SALU_CYCLE_1)
	s_or_b32 exec_lo, exec_lo, s5
                                        ; implicit-def: $vgpr25_vgpr26
.LBB0_57:                               ;   in Loop: Header=BB0_3 Depth=1
	s_and_not1_saveexec_b32 s0, s4
	s_cbranch_execz .LBB0_59
; %bb.58:                               ;   in Loop: Header=BB0_3 Depth=1
	flat_load_b64 v[23:24], v[25:26]
	s_waitcnt vmcnt(0) lgkmcnt(0)
	v_and_b32_e32 v9, 0xff, v24
	v_and_b32_e32 v25, 0xff00, v24
	;; [unrolled: 1-line block ×4, first 2 shown]
	v_or3_b32 v23, v23, 0, 0
	s_delay_alu instid0(VALU_DEP_4) | instskip(NEXT) | instid1(VALU_DEP_1)
	v_or_b32_e32 v9, v9, v25
	v_or3_b32 v24, v9, v26, v24
.LBB0_59:                               ;   in Loop: Header=BB0_3 Depth=1
	s_or_b32 exec_lo, exec_lo, s0
	v_readfirstlane_b32 s0, v33
	v_mov_b32_e32 v31, 0
	v_mov_b32_e32 v32, 0
	s_delay_alu instid0(VALU_DEP_3) | instskip(NEXT) | instid1(VALU_DEP_1)
	v_cmp_eq_u32_e64 s0, s0, v33
	s_and_saveexec_b32 s1, s0
	s_cbranch_execz .LBB0_65
; %bb.60:                               ;   in Loop: Header=BB0_3 Depth=1
	s_waitcnt lgkmcnt(0)
	global_load_b64 v[27:28], v10, s[2:3] offset:24 glc
	s_waitcnt vmcnt(0)
	buffer_gl1_inv
	buffer_gl0_inv
	s_clause 0x1
	global_load_b64 v[25:26], v10, s[2:3] offset:40
	global_load_b64 v[31:32], v10, s[2:3]
	s_mov_b32 s4, exec_lo
	s_waitcnt vmcnt(1)
	v_and_b32_e32 v9, v26, v28
	v_and_b32_e32 v25, v25, v27
	s_delay_alu instid0(VALU_DEP_2) | instskip(NEXT) | instid1(VALU_DEP_2)
	v_mul_lo_u32 v9, v9, 24
	v_mul_hi_u32 v26, v25, 24
	v_mul_lo_u32 v25, v25, 24
	s_delay_alu instid0(VALU_DEP_2) | instskip(SKIP_1) | instid1(VALU_DEP_2)
	v_add_nc_u32_e32 v9, v26, v9
	s_waitcnt vmcnt(0)
	v_add_co_u32 v25, vcc_lo, v31, v25
	s_delay_alu instid0(VALU_DEP_2)
	v_add_co_ci_u32_e32 v26, vcc_lo, v32, v9, vcc_lo
	global_load_b64 v[25:26], v[25:26], off glc
	s_waitcnt vmcnt(0)
	global_atomic_cmpswap_b64 v[31:32], v10, v[25:28], s[2:3] offset:24 glc
	s_waitcnt vmcnt(0)
	buffer_gl1_inv
	buffer_gl0_inv
	v_cmpx_ne_u64_e64 v[31:32], v[27:28]
	s_cbranch_execz .LBB0_64
; %bb.61:                               ;   in Loop: Header=BB0_3 Depth=1
	s_mov_b32 s5, 0
	.p2align	6
.LBB0_62:                               ;   Parent Loop BB0_3 Depth=1
                                        ; =>  This Inner Loop Header: Depth=2
	s_sleep 1
	s_clause 0x1
	global_load_b64 v[25:26], v10, s[2:3] offset:40
	global_load_b64 v[34:35], v10, s[2:3]
	v_dual_mov_b32 v27, v31 :: v_dual_mov_b32 v28, v32
	s_waitcnt vmcnt(1)
	s_delay_alu instid0(VALU_DEP_1) | instskip(SKIP_1) | instid1(VALU_DEP_1)
	v_and_b32_e32 v9, v25, v27
	s_waitcnt vmcnt(0)
	v_mad_u64_u32 v[31:32], null, v9, 24, v[34:35]
	s_delay_alu instid0(VALU_DEP_1) | instskip(NEXT) | instid1(VALU_DEP_1)
	v_dual_mov_b32 v9, v32 :: v_dual_and_b32 v34, v26, v28
	v_mad_u64_u32 v[25:26], null, v34, 24, v[9:10]
	s_delay_alu instid0(VALU_DEP_1)
	v_mov_b32_e32 v32, v25
	global_load_b64 v[25:26], v[31:32], off glc
	s_waitcnt vmcnt(0)
	global_atomic_cmpswap_b64 v[31:32], v10, v[25:28], s[2:3] offset:24 glc
	s_waitcnt vmcnt(0)
	buffer_gl1_inv
	buffer_gl0_inv
	v_cmp_eq_u64_e32 vcc_lo, v[31:32], v[27:28]
	s_or_b32 s5, vcc_lo, s5
	s_delay_alu instid0(SALU_CYCLE_1)
	s_and_not1_b32 exec_lo, exec_lo, s5
	s_cbranch_execnz .LBB0_62
; %bb.63:                               ;   in Loop: Header=BB0_3 Depth=1
	s_or_b32 exec_lo, exec_lo, s5
.LBB0_64:                               ;   in Loop: Header=BB0_3 Depth=1
	s_delay_alu instid0(SALU_CYCLE_1)
	s_or_b32 exec_lo, exec_lo, s4
.LBB0_65:                               ;   in Loop: Header=BB0_3 Depth=1
	s_delay_alu instid0(SALU_CYCLE_1)
	s_or_b32 exec_lo, exec_lo, s1
	s_waitcnt lgkmcnt(0)
	s_clause 0x1
	global_load_b64 v[34:35], v10, s[2:3] offset:40
	global_load_b128 v[25:28], v10, s[2:3]
	v_readfirstlane_b32 s4, v31
	v_readfirstlane_b32 s5, v32
	s_mov_b32 s1, exec_lo
	s_waitcnt vmcnt(1)
	v_readfirstlane_b32 s6, v34
	v_readfirstlane_b32 s7, v35
	s_delay_alu instid0(VALU_DEP_1) | instskip(NEXT) | instid1(SALU_CYCLE_1)
	s_and_b64 s[6:7], s[4:5], s[6:7]
	s_mul_i32 s13, s7, 24
	s_mul_hi_u32 s14, s6, 24
	s_mul_i32 s15, s6, 24
	s_add_i32 s14, s14, s13
	s_waitcnt vmcnt(0)
	v_add_co_u32 v31, vcc_lo, v25, s15
	v_add_co_ci_u32_e32 v32, vcc_lo, s14, v26, vcc_lo
	s_and_saveexec_b32 s13, s0
	s_cbranch_execz .LBB0_67
; %bb.66:                               ;   in Loop: Header=BB0_3 Depth=1
	v_mov_b32_e32 v9, s1
	global_store_b128 v[31:32], v[9:12], off offset:8
.LBB0_67:                               ;   in Loop: Header=BB0_3 Depth=1
	s_or_b32 exec_lo, exec_lo, s13
	v_cmp_lt_u64_e32 vcc_lo, 56, v[4:5]
	v_or_b32_e32 v9, 0, v1
	v_or_b32_e32 v34, v0, v6
	v_lshl_add_u32 v35, v29, 2, 28
	s_lshl_b64 s[6:7], s[6:7], 12
	s_delay_alu instid0(SALU_CYCLE_1) | instskip(NEXT) | instid1(VALU_DEP_1)
	v_add_co_u32 v27, s1, v27, s6
	v_add_co_ci_u32_e64 v28, s1, s7, v28, s1
	v_dual_cndmask_b32 v1, v9, v1 :: v_dual_cndmask_b32 v0, v34, v0
	v_and_b32_e32 v9, 0x1e0, v35
	v_lshlrev_b32_e32 v34, 6, v33
	v_readfirstlane_b32 s6, v27
	v_readfirstlane_b32 s7, v28
	s_delay_alu instid0(VALU_DEP_4)
	v_and_or_b32 v0, 0xffffff1f, v0, v9
	s_clause 0x3
	global_store_b128 v34, v[0:3], s[6:7]
	global_store_b128 v34, v[13:16], s[6:7] offset:16
	global_store_b128 v34, v[17:20], s[6:7] offset:32
	;; [unrolled: 1-line block ×3, first 2 shown]
	s_and_saveexec_b32 s1, s0
	s_cbranch_execz .LBB0_75
; %bb.68:                               ;   in Loop: Header=BB0_3 Depth=1
	s_clause 0x1
	global_load_b64 v[17:18], v10, s[2:3] offset:32 glc
	global_load_b64 v[0:1], v10, s[2:3] offset:40
	v_dual_mov_b32 v15, s4 :: v_dual_mov_b32 v16, s5
	s_waitcnt vmcnt(0)
	v_readfirstlane_b32 s6, v0
	v_readfirstlane_b32 s7, v1
	s_delay_alu instid0(VALU_DEP_1) | instskip(NEXT) | instid1(SALU_CYCLE_1)
	s_and_b64 s[6:7], s[6:7], s[4:5]
	s_mul_i32 s7, s7, 24
	s_mul_hi_u32 s13, s6, 24
	s_mul_i32 s6, s6, 24
	s_add_i32 s13, s13, s7
	v_add_co_u32 v13, vcc_lo, v25, s6
	v_add_co_ci_u32_e32 v14, vcc_lo, s13, v26, vcc_lo
	s_mov_b32 s6, exec_lo
	global_store_b64 v[13:14], v[17:18], off
	s_waitcnt_vscnt null, 0x0
	global_atomic_cmpswap_b64 v[2:3], v10, v[15:18], s[2:3] offset:32 glc
	s_waitcnt vmcnt(0)
	v_cmpx_ne_u64_e64 v[2:3], v[17:18]
	s_cbranch_execz .LBB0_71
; %bb.69:                               ;   in Loop: Header=BB0_3 Depth=1
	s_mov_b32 s7, 0
.LBB0_70:                               ;   Parent Loop BB0_3 Depth=1
                                        ; =>  This Inner Loop Header: Depth=2
	v_dual_mov_b32 v0, s4 :: v_dual_mov_b32 v1, s5
	s_sleep 1
	global_store_b64 v[13:14], v[2:3], off
	s_waitcnt_vscnt null, 0x0
	global_atomic_cmpswap_b64 v[0:1], v10, v[0:3], s[2:3] offset:32 glc
	s_waitcnt vmcnt(0)
	v_cmp_eq_u64_e32 vcc_lo, v[0:1], v[2:3]
	v_dual_mov_b32 v3, v1 :: v_dual_mov_b32 v2, v0
	s_or_b32 s7, vcc_lo, s7
	s_delay_alu instid0(SALU_CYCLE_1)
	s_and_not1_b32 exec_lo, exec_lo, s7
	s_cbranch_execnz .LBB0_70
.LBB0_71:                               ;   in Loop: Header=BB0_3 Depth=1
	s_or_b32 exec_lo, exec_lo, s6
	global_load_b64 v[0:1], v10, s[2:3] offset:16
	s_mov_b32 s7, exec_lo
	s_mov_b32 s6, exec_lo
	v_mbcnt_lo_u32_b32 v2, s7, 0
	s_delay_alu instid0(VALU_DEP_1)
	v_cmpx_eq_u32_e32 0, v2
	s_cbranch_execz .LBB0_73
; %bb.72:                               ;   in Loop: Header=BB0_3 Depth=1
	s_bcnt1_i32_b32 s7, s7
	s_delay_alu instid0(SALU_CYCLE_1)
	v_mov_b32_e32 v9, s7
	s_waitcnt vmcnt(0)
	global_atomic_add_u64 v[0:1], v[9:10], off offset:8
.LBB0_73:                               ;   in Loop: Header=BB0_3 Depth=1
	s_or_b32 exec_lo, exec_lo, s6
	s_waitcnt vmcnt(0)
	global_load_b64 v[2:3], v[0:1], off offset:16
	s_waitcnt vmcnt(0)
	v_cmp_eq_u64_e32 vcc_lo, 0, v[2:3]
	s_cbranch_vccnz .LBB0_75
; %bb.74:                               ;   in Loop: Header=BB0_3 Depth=1
	global_load_b32 v9, v[0:1], off offset:24
	s_waitcnt vmcnt(0)
	v_and_b32_e32 v0, 0xffffff, v9
	s_waitcnt_vscnt null, 0x0
	global_store_b64 v[2:3], v[9:10], off
	v_readfirstlane_b32 m0, v0
	s_sendmsg sendmsg(MSG_INTERRUPT)
.LBB0_75:                               ;   in Loop: Header=BB0_3 Depth=1
	s_or_b32 exec_lo, exec_lo, s1
	v_add_co_u32 v0, vcc_lo, v27, v34
	v_add_co_ci_u32_e32 v1, vcc_lo, 0, v28, vcc_lo
	s_branch .LBB0_79
	.p2align	6
.LBB0_76:                               ;   in Loop: Header=BB0_79 Depth=2
	s_or_b32 exec_lo, exec_lo, s1
	s_delay_alu instid0(VALU_DEP_1) | instskip(NEXT) | instid1(VALU_DEP_1)
	v_readfirstlane_b32 s1, v2
	s_cmp_eq_u32 s1, 0
	s_cbranch_scc1 .LBB0_78
; %bb.77:                               ;   in Loop: Header=BB0_79 Depth=2
	s_sleep 1
	s_cbranch_execnz .LBB0_79
	s_branch .LBB0_81
	.p2align	6
.LBB0_78:                               ;   in Loop: Header=BB0_3 Depth=1
	s_branch .LBB0_81
.LBB0_79:                               ;   Parent Loop BB0_3 Depth=1
                                        ; =>  This Inner Loop Header: Depth=2
	v_mov_b32_e32 v2, 1
	s_and_saveexec_b32 s1, s0
	s_cbranch_execz .LBB0_76
; %bb.80:                               ;   in Loop: Header=BB0_79 Depth=2
	global_load_b32 v2, v[31:32], off offset:20 glc
	s_waitcnt vmcnt(0)
	buffer_gl1_inv
	buffer_gl0_inv
	v_and_b32_e32 v2, 1, v2
	s_branch .LBB0_76
.LBB0_81:                               ;   in Loop: Header=BB0_3 Depth=1
	global_load_b128 v[0:3], v[0:1], off
	s_and_saveexec_b32 s1, s0
	s_cbranch_execz .LBB0_2
; %bb.82:                               ;   in Loop: Header=BB0_3 Depth=1
	s_clause 0x2
	global_load_b64 v[2:3], v10, s[2:3] offset:40
	global_load_b64 v[17:18], v10, s[2:3] offset:24 glc
	global_load_b64 v[15:16], v10, s[2:3]
	s_waitcnt vmcnt(2)
	v_add_co_u32 v9, vcc_lo, v2, 1
	v_add_co_ci_u32_e32 v19, vcc_lo, 0, v3, vcc_lo
	s_delay_alu instid0(VALU_DEP_2) | instskip(NEXT) | instid1(VALU_DEP_2)
	v_add_co_u32 v13, vcc_lo, v9, s4
	v_add_co_ci_u32_e32 v14, vcc_lo, s5, v19, vcc_lo
	s_delay_alu instid0(VALU_DEP_1) | instskip(SKIP_1) | instid1(VALU_DEP_1)
	v_cmp_eq_u64_e32 vcc_lo, 0, v[13:14]
	v_dual_cndmask_b32 v14, v14, v19 :: v_dual_cndmask_b32 v13, v13, v9
	v_and_b32_e32 v3, v14, v3
	s_delay_alu instid0(VALU_DEP_2) | instskip(NEXT) | instid1(VALU_DEP_2)
	v_and_b32_e32 v2, v13, v2
	v_mul_lo_u32 v3, v3, 24
	s_delay_alu instid0(VALU_DEP_2) | instskip(SKIP_1) | instid1(VALU_DEP_2)
	v_mul_hi_u32 v9, v2, 24
	v_mul_lo_u32 v2, v2, 24
	v_add_nc_u32_e32 v3, v9, v3
	s_waitcnt vmcnt(0)
	s_delay_alu instid0(VALU_DEP_2) | instskip(SKIP_1) | instid1(VALU_DEP_3)
	v_add_co_u32 v2, vcc_lo, v15, v2
	v_mov_b32_e32 v15, v17
	v_add_co_ci_u32_e32 v3, vcc_lo, v16, v3, vcc_lo
	v_mov_b32_e32 v16, v18
	global_store_b64 v[2:3], v[17:18], off
	s_waitcnt_vscnt null, 0x0
	global_atomic_cmpswap_b64 v[15:16], v10, v[13:16], s[2:3] offset:24 glc
	s_waitcnt vmcnt(0)
	v_cmp_ne_u64_e32 vcc_lo, v[15:16], v[17:18]
	s_and_b32 exec_lo, exec_lo, vcc_lo
	s_cbranch_execz .LBB0_2
; %bb.83:                               ;   in Loop: Header=BB0_3 Depth=1
	s_mov_b32 s0, 0
.LBB0_84:                               ;   Parent Loop BB0_3 Depth=1
                                        ; =>  This Inner Loop Header: Depth=2
	s_sleep 1
	global_store_b64 v[2:3], v[15:16], off
	s_waitcnt_vscnt null, 0x0
	global_atomic_cmpswap_b64 v[17:18], v10, v[13:16], s[2:3] offset:24 glc
	s_waitcnt vmcnt(0)
	v_cmp_eq_u64_e32 vcc_lo, v[17:18], v[15:16]
	v_dual_mov_b32 v15, v17 :: v_dual_mov_b32 v16, v18
	s_or_b32 s0, vcc_lo, s0
	s_delay_alu instid0(SALU_CYCLE_1)
	s_and_not1_b32 exec_lo, exec_lo, s0
	s_cbranch_execnz .LBB0_84
	s_branch .LBB0_2
.LBB0_85:
	s_or_b32 exec_lo, exec_lo, s12
                                        ; implicit-def: $vgpr0
                                        ; implicit-def: $vgpr33
                                        ; implicit-def: $vgpr1
.LBB0_86:
	s_and_not1_saveexec_b32 s1, s10
	s_cbranch_execz .LBB0_108
; %bb.87:
	s_load_b64 s[2:3], s[8:9], 0x50
	v_readfirstlane_b32 s0, v33
	v_mov_b32_e32 v8, 0
	v_mov_b32_e32 v9, 0
	s_delay_alu instid0(VALU_DEP_3) | instskip(NEXT) | instid1(VALU_DEP_1)
	v_cmp_eq_u32_e64 s0, s0, v33
	s_and_saveexec_b32 s4, s0
	s_cbranch_execz .LBB0_93
; %bb.88:
	s_waitcnt vmcnt(0)
	v_mov_b32_e32 v2, 0
	s_mov_b32 s5, exec_lo
	s_waitcnt lgkmcnt(0)
	global_load_b64 v[5:6], v2, s[2:3] offset:24 glc
	s_waitcnt vmcnt(0)
	buffer_gl1_inv
	buffer_gl0_inv
	s_clause 0x1
	global_load_b64 v[3:4], v2, s[2:3] offset:40
	global_load_b64 v[7:8], v2, s[2:3]
	s_waitcnt vmcnt(1)
	v_and_b32_e32 v3, v3, v5
	v_and_b32_e32 v4, v4, v6
	s_delay_alu instid0(VALU_DEP_2) | instskip(NEXT) | instid1(VALU_DEP_2)
	v_mul_hi_u32 v9, v3, 24
	v_mul_lo_u32 v4, v4, 24
	v_mul_lo_u32 v3, v3, 24
	s_delay_alu instid0(VALU_DEP_2) | instskip(SKIP_1) | instid1(VALU_DEP_2)
	v_add_nc_u32_e32 v4, v9, v4
	s_waitcnt vmcnt(0)
	v_add_co_u32 v3, vcc_lo, v7, v3
	s_delay_alu instid0(VALU_DEP_2)
	v_add_co_ci_u32_e32 v4, vcc_lo, v8, v4, vcc_lo
	global_load_b64 v[3:4], v[3:4], off glc
	s_waitcnt vmcnt(0)
	global_atomic_cmpswap_b64 v[8:9], v2, v[3:6], s[2:3] offset:24 glc
	s_waitcnt vmcnt(0)
	buffer_gl1_inv
	buffer_gl0_inv
	v_cmpx_ne_u64_e64 v[8:9], v[5:6]
	s_cbranch_execz .LBB0_92
; %bb.89:
	s_mov_b32 s6, 0
	.p2align	6
.LBB0_90:                               ; =>This Inner Loop Header: Depth=1
	s_sleep 1
	s_clause 0x1
	global_load_b64 v[3:4], v2, s[2:3] offset:40
	global_load_b64 v[10:11], v2, s[2:3]
	v_dual_mov_b32 v5, v8 :: v_dual_mov_b32 v6, v9
	s_waitcnt vmcnt(1)
	s_delay_alu instid0(VALU_DEP_1) | instskip(NEXT) | instid1(VALU_DEP_2)
	v_and_b32_e32 v3, v3, v5
	v_and_b32_e32 v4, v4, v6
	s_waitcnt vmcnt(0)
	s_delay_alu instid0(VALU_DEP_2) | instskip(NEXT) | instid1(VALU_DEP_1)
	v_mad_u64_u32 v[7:8], null, v3, 24, v[10:11]
	v_mov_b32_e32 v3, v8
	s_delay_alu instid0(VALU_DEP_1)
	v_mad_u64_u32 v[8:9], null, v4, 24, v[3:4]
	global_load_b64 v[3:4], v[7:8], off glc
	s_waitcnt vmcnt(0)
	global_atomic_cmpswap_b64 v[8:9], v2, v[3:6], s[2:3] offset:24 glc
	s_waitcnt vmcnt(0)
	buffer_gl1_inv
	buffer_gl0_inv
	v_cmp_eq_u64_e32 vcc_lo, v[8:9], v[5:6]
	s_or_b32 s6, vcc_lo, s6
	s_delay_alu instid0(SALU_CYCLE_1)
	s_and_not1_b32 exec_lo, exec_lo, s6
	s_cbranch_execnz .LBB0_90
; %bb.91:
	s_or_b32 exec_lo, exec_lo, s6
.LBB0_92:
	s_delay_alu instid0(SALU_CYCLE_1)
	s_or_b32 exec_lo, exec_lo, s5
.LBB0_93:
	s_delay_alu instid0(SALU_CYCLE_1)
	s_or_b32 exec_lo, exec_lo, s4
	s_waitcnt vmcnt(0)
	v_mov_b32_e32 v2, 0
	v_readfirstlane_b32 s4, v8
	v_readfirstlane_b32 s5, v9
	s_mov_b32 s8, exec_lo
	s_waitcnt lgkmcnt(0)
	s_clause 0x1
	global_load_b64 v[10:11], v2, s[2:3] offset:40
	global_load_b128 v[4:7], v2, s[2:3]
	s_waitcnt vmcnt(1)
	v_readfirstlane_b32 s6, v10
	v_readfirstlane_b32 s7, v11
	s_delay_alu instid0(VALU_DEP_1) | instskip(NEXT) | instid1(SALU_CYCLE_1)
	s_and_b64 s[6:7], s[4:5], s[6:7]
	s_mul_i32 s9, s7, 24
	s_mul_hi_u32 s10, s6, 24
	s_mul_i32 s11, s6, 24
	s_add_i32 s10, s10, s9
	s_waitcnt vmcnt(0)
	v_add_co_u32 v8, vcc_lo, v4, s11
	v_add_co_ci_u32_e32 v9, vcc_lo, s10, v5, vcc_lo
	s_and_saveexec_b32 s9, s0
	s_cbranch_execz .LBB0_95
; %bb.94:
	v_dual_mov_b32 v10, s8 :: v_dual_mov_b32 v11, v2
	v_dual_mov_b32 v12, 2 :: v_dual_mov_b32 v13, 1
	global_store_b128 v[8:9], v[10:13], off offset:8
.LBB0_95:
	s_or_b32 exec_lo, exec_lo, s9
	s_lshl_b64 s[6:7], s[6:7], 12
	s_mov_b32 s8, 0
	v_add_co_u32 v6, vcc_lo, v6, s6
	v_add_co_ci_u32_e32 v7, vcc_lo, s7, v7, vcc_lo
	s_mov_b32 s11, s8
	s_mov_b32 s9, s8
	;; [unrolled: 1-line block ×3, first 2 shown]
	v_and_or_b32 v0, 0xffffff1f, v0, 32
	v_dual_mov_b32 v3, v2 :: v_dual_lshlrev_b32 v14, 6, v33
	v_readfirstlane_b32 s6, v6
	v_readfirstlane_b32 s7, v7
	v_dual_mov_b32 v13, s11 :: v_dual_mov_b32 v12, s10
	v_dual_mov_b32 v11, s9 :: v_dual_mov_b32 v10, s8
	s_clause 0x3
	global_store_b128 v14, v[0:3], s[6:7]
	global_store_b128 v14, v[10:13], s[6:7] offset:16
	global_store_b128 v14, v[10:13], s[6:7] offset:32
	;; [unrolled: 1-line block ×3, first 2 shown]
	s_and_saveexec_b32 s6, s0
	s_cbranch_execz .LBB0_102
; %bb.96:
	v_mov_b32_e32 v6, 0
	s_mov_b32 s7, exec_lo
	s_clause 0x1
	global_load_b64 v[12:13], v6, s[2:3] offset:32 glc
	global_load_b64 v[0:1], v6, s[2:3] offset:40
	v_dual_mov_b32 v11, s5 :: v_dual_mov_b32 v10, s4
	s_waitcnt vmcnt(0)
	v_and_b32_e32 v1, s5, v1
	v_and_b32_e32 v0, s4, v0
	s_delay_alu instid0(VALU_DEP_2) | instskip(NEXT) | instid1(VALU_DEP_2)
	v_mul_lo_u32 v1, v1, 24
	v_mul_hi_u32 v2, v0, 24
	v_mul_lo_u32 v0, v0, 24
	s_delay_alu instid0(VALU_DEP_2) | instskip(NEXT) | instid1(VALU_DEP_2)
	v_add_nc_u32_e32 v1, v2, v1
	v_add_co_u32 v4, vcc_lo, v4, v0
	s_delay_alu instid0(VALU_DEP_2)
	v_add_co_ci_u32_e32 v5, vcc_lo, v5, v1, vcc_lo
	global_store_b64 v[4:5], v[12:13], off
	s_waitcnt_vscnt null, 0x0
	global_atomic_cmpswap_b64 v[2:3], v6, v[10:13], s[2:3] offset:32 glc
	s_waitcnt vmcnt(0)
	v_cmpx_ne_u64_e64 v[2:3], v[12:13]
	s_cbranch_execz .LBB0_98
.LBB0_97:                               ; =>This Inner Loop Header: Depth=1
	v_dual_mov_b32 v0, s4 :: v_dual_mov_b32 v1, s5
	s_sleep 1
	global_store_b64 v[4:5], v[2:3], off
	s_waitcnt_vscnt null, 0x0
	global_atomic_cmpswap_b64 v[0:1], v6, v[0:3], s[2:3] offset:32 glc
	s_waitcnt vmcnt(0)
	v_cmp_eq_u64_e32 vcc_lo, v[0:1], v[2:3]
	v_dual_mov_b32 v3, v1 :: v_dual_mov_b32 v2, v0
	s_or_b32 s8, vcc_lo, s8
	s_delay_alu instid0(SALU_CYCLE_1)
	s_and_not1_b32 exec_lo, exec_lo, s8
	s_cbranch_execnz .LBB0_97
.LBB0_98:
	s_or_b32 exec_lo, exec_lo, s7
	v_mov_b32_e32 v3, 0
	s_mov_b32 s8, exec_lo
	s_mov_b32 s7, exec_lo
	v_mbcnt_lo_u32_b32 v2, s8, 0
	global_load_b64 v[0:1], v3, s[2:3] offset:16
	v_cmpx_eq_u32_e32 0, v2
	s_cbranch_execz .LBB0_100
; %bb.99:
	s_bcnt1_i32_b32 s8, s8
	s_delay_alu instid0(SALU_CYCLE_1)
	v_mov_b32_e32 v2, s8
	s_waitcnt vmcnt(0)
	global_atomic_add_u64 v[0:1], v[2:3], off offset:8
.LBB0_100:
	s_or_b32 exec_lo, exec_lo, s7
	s_waitcnt vmcnt(0)
	global_load_b64 v[2:3], v[0:1], off offset:16
	s_waitcnt vmcnt(0)
	v_cmp_eq_u64_e32 vcc_lo, 0, v[2:3]
	s_cbranch_vccnz .LBB0_102
; %bb.101:
	global_load_b32 v0, v[0:1], off offset:24
	s_waitcnt vmcnt(0)
	v_dual_mov_b32 v1, 0 :: v_dual_and_b32 v4, 0xffffff, v0
	s_waitcnt_vscnt null, 0x0
	global_store_b64 v[2:3], v[0:1], off
	v_readfirstlane_b32 m0, v4
	s_sendmsg sendmsg(MSG_INTERRUPT)
.LBB0_102:
	s_or_b32 exec_lo, exec_lo, s6
	s_branch .LBB0_106
	.p2align	6
.LBB0_103:                              ;   in Loop: Header=BB0_106 Depth=1
	s_or_b32 exec_lo, exec_lo, s6
	s_delay_alu instid0(VALU_DEP_1) | instskip(NEXT) | instid1(VALU_DEP_1)
	v_readfirstlane_b32 s6, v0
	s_cmp_eq_u32 s6, 0
	s_cbranch_scc1 .LBB0_105
; %bb.104:                              ;   in Loop: Header=BB0_106 Depth=1
	s_sleep 1
	s_cbranch_execnz .LBB0_106
	s_branch .LBB0_109
	.p2align	6
.LBB0_105:
	s_branch .LBB0_109
.LBB0_106:                              ; =>This Inner Loop Header: Depth=1
	v_mov_b32_e32 v0, 1
	s_and_saveexec_b32 s6, s0
	s_cbranch_execz .LBB0_103
; %bb.107:                              ;   in Loop: Header=BB0_106 Depth=1
	global_load_b32 v0, v[8:9], off offset:20 glc
	s_waitcnt vmcnt(0)
	buffer_gl1_inv
	buffer_gl0_inv
	v_and_b32_e32 v0, 1, v0
	s_branch .LBB0_103
.LBB0_108:
	s_or_b32 exec_lo, exec_lo, s1
	s_waitcnt vmcnt(0) lgkmcnt(0)
	s_setpc_b64 s[30:31]
.LBB0_109:
	s_and_saveexec_b32 s6, s0
	s_cbranch_execz .LBB0_113
; %bb.110:
	v_mov_b32_e32 v6, 0
	s_clause 0x2
	global_load_b64 v[2:3], v6, s[2:3] offset:40
	global_load_b64 v[7:8], v6, s[2:3] offset:24 glc
	global_load_b64 v[4:5], v6, s[2:3]
	s_waitcnt vmcnt(2)
	v_add_co_u32 v9, vcc_lo, v2, 1
	v_add_co_ci_u32_e32 v10, vcc_lo, 0, v3, vcc_lo
	s_delay_alu instid0(VALU_DEP_2) | instskip(NEXT) | instid1(VALU_DEP_2)
	v_add_co_u32 v0, vcc_lo, v9, s4
	v_add_co_ci_u32_e32 v1, vcc_lo, s5, v10, vcc_lo
	s_delay_alu instid0(VALU_DEP_1) | instskip(SKIP_1) | instid1(VALU_DEP_1)
	v_cmp_eq_u64_e32 vcc_lo, 0, v[0:1]
	v_dual_cndmask_b32 v1, v1, v10 :: v_dual_cndmask_b32 v0, v0, v9
	v_and_b32_e32 v3, v1, v3
	s_delay_alu instid0(VALU_DEP_2) | instskip(NEXT) | instid1(VALU_DEP_2)
	v_and_b32_e32 v2, v0, v2
	v_mul_lo_u32 v3, v3, 24
	s_delay_alu instid0(VALU_DEP_2) | instskip(SKIP_1) | instid1(VALU_DEP_2)
	v_mul_hi_u32 v9, v2, 24
	v_mul_lo_u32 v2, v2, 24
	v_add_nc_u32_e32 v3, v9, v3
	s_waitcnt vmcnt(0)
	s_delay_alu instid0(VALU_DEP_2) | instskip(SKIP_1) | instid1(VALU_DEP_3)
	v_add_co_u32 v4, vcc_lo, v4, v2
	v_mov_b32_e32 v2, v7
	v_add_co_ci_u32_e32 v5, vcc_lo, v5, v3, vcc_lo
	v_mov_b32_e32 v3, v8
	global_store_b64 v[4:5], v[7:8], off
	s_waitcnt_vscnt null, 0x0
	global_atomic_cmpswap_b64 v[2:3], v6, v[0:3], s[2:3] offset:24 glc
	s_waitcnt vmcnt(0)
	v_cmp_ne_u64_e32 vcc_lo, v[2:3], v[7:8]
	s_and_b32 exec_lo, exec_lo, vcc_lo
	s_cbranch_execz .LBB0_113
; %bb.111:
	s_mov_b32 s0, 0
.LBB0_112:                              ; =>This Inner Loop Header: Depth=1
	s_sleep 1
	global_store_b64 v[4:5], v[2:3], off
	s_waitcnt_vscnt null, 0x0
	global_atomic_cmpswap_b64 v[7:8], v6, v[0:3], s[2:3] offset:24 glc
	s_waitcnt vmcnt(0)
	v_cmp_eq_u64_e32 vcc_lo, v[7:8], v[2:3]
	v_dual_mov_b32 v2, v7 :: v_dual_mov_b32 v3, v8
	s_or_b32 s0, vcc_lo, s0
	s_delay_alu instid0(SALU_CYCLE_1)
	s_and_not1_b32 exec_lo, exec_lo, s0
	s_cbranch_execnz .LBB0_112
.LBB0_113:
	s_or_b32 exec_lo, exec_lo, s6
	s_delay_alu instid0(SALU_CYCLE_1)
	s_or_b32 exec_lo, exec_lo, s1
	s_waitcnt lgkmcnt(0)
	s_setpc_b64 s[30:31]
.Lfunc_end0:
	.size	__ockl_fprintf_append_string_n, .Lfunc_end0-__ockl_fprintf_append_string_n
                                        ; -- End function
	.section	.AMDGPU.csdata,"",@progbits
; Function info:
; codeLenInByte = 4740
; NumSgprs: 34
; NumVgprs: 36
; ScratchSize: 0
; MemoryBound: 0
	.text
	.p2align	2                               ; -- Begin function __assert_fail
	.type	__assert_fail,@function
__assert_fail:                          ; @__assert_fail
; %bb.0:
	s_waitcnt vmcnt(0) expcnt(0) lgkmcnt(0)
	s_mov_b32 s20, s33
	s_mov_b32 s33, s32
	s_or_saveexec_b32 s0, -1
	scratch_store_b32 off, v40, s33 offset:48 ; 4-byte Folded Spill
	s_mov_b32 exec_lo, s0
	v_writelane_b32 v40, s30, 0
	s_add_i32 s32, s32, 64
	v_writelane_b32 v40, s31, 1
	s_getpc_b64 s[0:1]
	s_add_u32 s0, s0, __const.__assert_fail.fmt@rel32@lo+4
	s_addc_u32 s1, s1, __const.__assert_fail.fmt@rel32@hi+12
	s_getpc_b64 s[2:3]
	s_add_u32 s2, s2, __const.__assert_fail.fmt@rel32@lo+20
	s_addc_u32 s3, s3, __const.__assert_fail.fmt@rel32@hi+28
	v_mbcnt_lo_u32_b32 v35, -1, 0
	s_clause 0x1
	s_load_b128 s[4:7], s[0:1], 0x0
	s_load_b128 s[12:15], s[2:3], 0x0
	s_load_b64 s[2:3], s[8:9], 0x50
	v_dual_mov_b32 v5, v1 :: v_dual_mov_b32 v4, v0
	v_mov_b32_e32 v14, 0x73256020
	v_readfirstlane_b32 s0, v35
	v_mov_b32_e32 v0, 0
	v_dual_mov_b32 v2, 0 :: v_dual_mov_b32 v3, 0xa2e
	v_mov_b32_e32 v15, 0x61662027
	v_dual_mov_b32 v16, 0x64656c69 :: v_dual_mov_b32 v1, 0
	v_cmp_eq_u32_e64 s0, s0, v35
	s_waitcnt lgkmcnt(0)
	v_dual_mov_b32 v9, s7 :: v_dual_mov_b32 v8, s6
	v_dual_mov_b32 v7, s5 :: v_dual_mov_b32 v6, s4
	;; [unrolled: 1-line block ×4, first 2 shown]
	s_clause 0x4
	scratch_store_b128 off, v[6:9], s33
	scratch_store_b128 off, v[10:13], s33 offset:16
	scratch_store_b8 off, v2, s33 offset:46
	scratch_store_b16 off, v3, s33 offset:44
	scratch_store_b96 off, v[14:16], s33 offset:32
	s_and_saveexec_b32 s1, s0
	s_cbranch_execz .LBB1_6
; %bb.1:
	global_load_b64 v[8:9], v2, s[2:3] offset:24 glc
	s_waitcnt vmcnt(0)
	buffer_gl1_inv
	buffer_gl0_inv
	s_clause 0x1
	global_load_b64 v[0:1], v2, s[2:3] offset:40
	global_load_b64 v[6:7], v2, s[2:3]
	s_mov_b32 s4, exec_lo
	s_waitcnt vmcnt(1)
	v_and_b32_e32 v1, v1, v9
	v_and_b32_e32 v0, v0, v8
	s_delay_alu instid0(VALU_DEP_2) | instskip(NEXT) | instid1(VALU_DEP_2)
	v_mul_lo_u32 v1, v1, 24
	v_mul_hi_u32 v3, v0, 24
	v_mul_lo_u32 v0, v0, 24
	s_delay_alu instid0(VALU_DEP_2) | instskip(SKIP_1) | instid1(VALU_DEP_2)
	v_add_nc_u32_e32 v1, v3, v1
	s_waitcnt vmcnt(0)
	v_add_co_u32 v0, vcc_lo, v6, v0
	s_delay_alu instid0(VALU_DEP_2)
	v_add_co_ci_u32_e32 v1, vcc_lo, v7, v1, vcc_lo
	global_load_b64 v[6:7], v[0:1], off glc
	s_waitcnt vmcnt(0)
	global_atomic_cmpswap_b64 v[0:1], v2, v[6:9], s[2:3] offset:24 glc
	s_waitcnt vmcnt(0)
	buffer_gl1_inv
	buffer_gl0_inv
	v_cmpx_ne_u64_e64 v[0:1], v[8:9]
	s_cbranch_execz .LBB1_5
; %bb.2:
	s_mov_b32 s5, 0
	.p2align	6
.LBB1_3:                                ; =>This Inner Loop Header: Depth=1
	s_sleep 1
	s_clause 0x1
	global_load_b64 v[6:7], v2, s[2:3] offset:40
	global_load_b64 v[10:11], v2, s[2:3]
	v_dual_mov_b32 v9, v1 :: v_dual_mov_b32 v8, v0
	s_waitcnt vmcnt(1)
	s_delay_alu instid0(VALU_DEP_1) | instskip(SKIP_1) | instid1(VALU_DEP_1)
	v_and_b32_e32 v3, v6, v8
	s_waitcnt vmcnt(0)
	v_mad_u64_u32 v[0:1], null, v3, 24, v[10:11]
	v_and_b32_e32 v3, v7, v9
	s_delay_alu instid0(VALU_DEP_1) | instskip(NEXT) | instid1(VALU_DEP_1)
	v_mad_u64_u32 v[6:7], null, v3, 24, v[1:2]
	v_mov_b32_e32 v1, v6
	global_load_b64 v[6:7], v[0:1], off glc
	s_waitcnt vmcnt(0)
	global_atomic_cmpswap_b64 v[0:1], v2, v[6:9], s[2:3] offset:24 glc
	s_waitcnt vmcnt(0)
	buffer_gl1_inv
	buffer_gl0_inv
	v_cmp_eq_u64_e32 vcc_lo, v[0:1], v[8:9]
	s_or_b32 s5, vcc_lo, s5
	s_delay_alu instid0(SALU_CYCLE_1)
	s_and_not1_b32 exec_lo, exec_lo, s5
	s_cbranch_execnz .LBB1_3
; %bb.4:
	s_or_b32 exec_lo, exec_lo, s5
.LBB1_5:
	s_delay_alu instid0(SALU_CYCLE_1)
	s_or_b32 exec_lo, exec_lo, s4
.LBB1_6:
	s_delay_alu instid0(SALU_CYCLE_1)
	s_or_b32 exec_lo, exec_lo, s1
	s_clause 0x1
	global_load_b64 v[10:11], v2, s[2:3] offset:40
	global_load_b128 v[6:9], v2, s[2:3]
	v_readfirstlane_b32 s4, v0
	v_readfirstlane_b32 s5, v1
	s_mov_b32 s1, exec_lo
	s_waitcnt vmcnt(1)
	v_readfirstlane_b32 s6, v10
	v_readfirstlane_b32 s7, v11
	s_delay_alu instid0(VALU_DEP_1) | instskip(NEXT) | instid1(SALU_CYCLE_1)
	s_and_b64 s[6:7], s[4:5], s[6:7]
	s_mul_i32 s10, s7, 24
	s_mul_hi_u32 s11, s6, 24
	s_mul_i32 s12, s6, 24
	s_add_i32 s11, s11, s10
	s_waitcnt vmcnt(0)
	v_add_co_u32 v10, vcc_lo, v6, s12
	v_add_co_ci_u32_e32 v11, vcc_lo, s11, v7, vcc_lo
	s_and_saveexec_b32 s10, s0
	s_cbranch_execz .LBB1_8
; %bb.7:
	v_dual_mov_b32 v0, s1 :: v_dual_mov_b32 v1, 0
	v_dual_mov_b32 v2, 2 :: v_dual_mov_b32 v3, 1
	global_store_b128 v[10:11], v[0:3], off offset:8
.LBB1_8:
	s_or_b32 exec_lo, exec_lo, s10
	s_lshl_b64 s[6:7], s[6:7], 12
	v_dual_mov_b32 v1, 0 :: v_dual_lshlrev_b32 v34, 6, v35
	v_add_co_u32 v8, vcc_lo, v8, s6
	v_add_co_ci_u32_e32 v9, vcc_lo, s7, v9, vcc_lo
	s_mov_b32 s12, 0
	s_delay_alu instid0(VALU_DEP_2)
	v_add_co_u32 v12, vcc_lo, v8, v34
	s_mov_b32 s15, s12
	s_mov_b32 s13, s12
	;; [unrolled: 1-line block ×3, first 2 shown]
	v_dual_mov_b32 v0, 33 :: v_dual_mov_b32 v3, v1
	v_dual_mov_b32 v2, 1 :: v_dual_mov_b32 v17, s15
	v_readfirstlane_b32 s6, v8
	v_readfirstlane_b32 s7, v9
	v_add_co_ci_u32_e32 v13, vcc_lo, 0, v9, vcc_lo
	v_dual_mov_b32 v16, s14 :: v_dual_mov_b32 v15, s13
	v_mov_b32_e32 v14, s12
	s_clause 0x3
	global_store_b128 v34, v[0:3], s[6:7]
	global_store_b128 v34, v[14:17], s[6:7] offset:16
	global_store_b128 v34, v[14:17], s[6:7] offset:32
	;; [unrolled: 1-line block ×3, first 2 shown]
	s_and_saveexec_b32 s1, s0
	s_cbranch_execz .LBB1_16
; %bb.9:
	s_clause 0x1
	global_load_b64 v[16:17], v1, s[2:3] offset:32 glc
	global_load_b64 v[2:3], v1, s[2:3] offset:40
	v_mov_b32_e32 v14, s4
	s_mov_b32 s6, exec_lo
	s_waitcnt vmcnt(0)
	v_dual_mov_b32 v15, s5 :: v_dual_and_b32 v0, s5, v3
	v_and_b32_e32 v2, s4, v2
	s_delay_alu instid0(VALU_DEP_2) | instskip(NEXT) | instid1(VALU_DEP_2)
	v_mul_lo_u32 v0, v0, 24
	v_mul_hi_u32 v3, v2, 24
	v_mul_lo_u32 v2, v2, 24
	s_delay_alu instid0(VALU_DEP_2) | instskip(NEXT) | instid1(VALU_DEP_2)
	v_add_nc_u32_e32 v0, v3, v0
	v_add_co_u32 v2, vcc_lo, v6, v2
	s_delay_alu instid0(VALU_DEP_2)
	v_add_co_ci_u32_e32 v3, vcc_lo, v7, v0, vcc_lo
	global_store_b64 v[2:3], v[16:17], off
	s_waitcnt_vscnt null, 0x0
	global_atomic_cmpswap_b64 v[8:9], v1, v[14:17], s[2:3] offset:32 glc
	s_waitcnt vmcnt(0)
	v_cmpx_ne_u64_e64 v[8:9], v[16:17]
	s_cbranch_execz .LBB1_12
; %bb.10:
	s_mov_b32 s7, 0
.LBB1_11:                               ; =>This Inner Loop Header: Depth=1
	v_dual_mov_b32 v6, s4 :: v_dual_mov_b32 v7, s5
	s_sleep 1
	global_store_b64 v[2:3], v[8:9], off
	s_waitcnt_vscnt null, 0x0
	global_atomic_cmpswap_b64 v[6:7], v1, v[6:9], s[2:3] offset:32 glc
	s_waitcnt vmcnt(0)
	v_cmp_eq_u64_e32 vcc_lo, v[6:7], v[8:9]
	v_dual_mov_b32 v9, v7 :: v_dual_mov_b32 v8, v6
	s_or_b32 s7, vcc_lo, s7
	s_delay_alu instid0(SALU_CYCLE_1)
	s_and_not1_b32 exec_lo, exec_lo, s7
	s_cbranch_execnz .LBB1_11
.LBB1_12:
	s_or_b32 exec_lo, exec_lo, s6
	v_mov_b32_e32 v3, 0
	s_mov_b32 s7, exec_lo
	s_mov_b32 s6, exec_lo
	v_mbcnt_lo_u32_b32 v2, s7, 0
	global_load_b64 v[0:1], v3, s[2:3] offset:16
	v_cmpx_eq_u32_e32 0, v2
	s_cbranch_execz .LBB1_14
; %bb.13:
	s_bcnt1_i32_b32 s7, s7
	s_delay_alu instid0(SALU_CYCLE_1)
	v_mov_b32_e32 v2, s7
	s_waitcnt vmcnt(0)
	global_atomic_add_u64 v[0:1], v[2:3], off offset:8
.LBB1_14:
	s_or_b32 exec_lo, exec_lo, s6
	s_waitcnt vmcnt(0)
	global_load_b64 v[2:3], v[0:1], off offset:16
	s_waitcnt vmcnt(0)
	v_cmp_eq_u64_e32 vcc_lo, 0, v[2:3]
	s_cbranch_vccnz .LBB1_16
; %bb.15:
	global_load_b32 v0, v[0:1], off offset:24
	s_waitcnt vmcnt(0)
	v_dual_mov_b32 v1, 0 :: v_dual_and_b32 v6, 0xffffff, v0
	s_waitcnt_vscnt null, 0x0
	global_store_b64 v[2:3], v[0:1], off
	v_readfirstlane_b32 m0, v6
	s_sendmsg sendmsg(MSG_INTERRUPT)
.LBB1_16:
	s_or_b32 exec_lo, exec_lo, s1
	s_branch .LBB1_20
	.p2align	6
.LBB1_17:                               ;   in Loop: Header=BB1_20 Depth=1
	s_or_b32 exec_lo, exec_lo, s1
	s_delay_alu instid0(VALU_DEP_1) | instskip(NEXT) | instid1(VALU_DEP_1)
	v_readfirstlane_b32 s1, v0
	s_cmp_eq_u32 s1, 0
	s_cbranch_scc1 .LBB1_19
; %bb.18:                               ;   in Loop: Header=BB1_20 Depth=1
	s_sleep 1
	s_cbranch_execnz .LBB1_20
	s_branch .LBB1_22
	.p2align	6
.LBB1_19:
	s_branch .LBB1_22
.LBB1_20:                               ; =>This Inner Loop Header: Depth=1
	v_mov_b32_e32 v0, 1
	s_and_saveexec_b32 s1, s0
	s_cbranch_execz .LBB1_17
; %bb.21:                               ;   in Loop: Header=BB1_20 Depth=1
	global_load_b32 v0, v[10:11], off offset:20 glc
	s_waitcnt vmcnt(0)
	buffer_gl1_inv
	buffer_gl0_inv
	v_and_b32_e32 v0, 1, v0
	s_branch .LBB1_17
.LBB1_22:
	global_load_b64 v[6:7], v[12:13], off
	s_and_saveexec_b32 s1, s0
	s_cbranch_execz .LBB1_26
; %bb.23:
	v_mov_b32_e32 v10, 0
	s_clause 0x2
	global_load_b64 v[2:3], v10, s[2:3] offset:40
	global_load_b64 v[11:12], v10, s[2:3] offset:24 glc
	global_load_b64 v[8:9], v10, s[2:3]
	s_waitcnt vmcnt(2)
	v_add_co_u32 v13, vcc_lo, v2, 1
	v_add_co_ci_u32_e32 v14, vcc_lo, 0, v3, vcc_lo
	s_delay_alu instid0(VALU_DEP_2) | instskip(NEXT) | instid1(VALU_DEP_2)
	v_add_co_u32 v0, vcc_lo, v13, s4
	v_add_co_ci_u32_e32 v1, vcc_lo, s5, v14, vcc_lo
	s_delay_alu instid0(VALU_DEP_1) | instskip(SKIP_1) | instid1(VALU_DEP_1)
	v_cmp_eq_u64_e32 vcc_lo, 0, v[0:1]
	v_dual_cndmask_b32 v1, v1, v14 :: v_dual_cndmask_b32 v0, v0, v13
	v_and_b32_e32 v3, v1, v3
	s_delay_alu instid0(VALU_DEP_2) | instskip(NEXT) | instid1(VALU_DEP_2)
	v_and_b32_e32 v2, v0, v2
	v_mul_lo_u32 v3, v3, 24
	s_delay_alu instid0(VALU_DEP_2) | instskip(SKIP_1) | instid1(VALU_DEP_2)
	v_mul_hi_u32 v13, v2, 24
	v_mul_lo_u32 v2, v2, 24
	v_add_nc_u32_e32 v3, v13, v3
	s_waitcnt vmcnt(0)
	s_delay_alu instid0(VALU_DEP_2) | instskip(SKIP_1) | instid1(VALU_DEP_3)
	v_add_co_u32 v8, vcc_lo, v8, v2
	v_mov_b32_e32 v2, v11
	v_add_co_ci_u32_e32 v9, vcc_lo, v9, v3, vcc_lo
	v_mov_b32_e32 v3, v12
	global_store_b64 v[8:9], v[11:12], off
	s_waitcnt_vscnt null, 0x0
	global_atomic_cmpswap_b64 v[2:3], v10, v[0:3], s[2:3] offset:24 glc
	s_waitcnt vmcnt(0)
	v_cmp_ne_u64_e32 vcc_lo, v[2:3], v[11:12]
	s_and_b32 exec_lo, exec_lo, vcc_lo
	s_cbranch_execz .LBB1_26
; %bb.24:
	s_mov_b32 s0, 0
.LBB1_25:                               ; =>This Inner Loop Header: Depth=1
	s_sleep 1
	global_store_b64 v[8:9], v[2:3], off
	s_waitcnt_vscnt null, 0x0
	global_atomic_cmpswap_b64 v[11:12], v10, v[0:3], s[2:3] offset:24 glc
	s_waitcnt vmcnt(0)
	v_cmp_eq_u64_e32 vcc_lo, v[11:12], v[2:3]
	v_dual_mov_b32 v2, v11 :: v_dual_mov_b32 v3, v12
	s_or_b32 s0, vcc_lo, s0
	s_delay_alu instid0(SALU_CYCLE_1)
	s_and_not1_b32 exec_lo, exec_lo, s0
	s_cbranch_execnz .LBB1_25
.LBB1_26:
	s_or_b32 exec_lo, exec_lo, s1
	v_mov_b32_e32 v1, s33
	s_mov_b32 s0, 0
.LBB1_27:                               ; =>This Inner Loop Header: Depth=1
	scratch_load_u8 v2, v1, off
	v_add_nc_u32_e32 v0, 1, v1
	s_delay_alu instid0(VALU_DEP_1) | instskip(SKIP_3) | instid1(SALU_CYCLE_1)
	v_mov_b32_e32 v1, v0
	s_waitcnt vmcnt(0)
	v_cmp_eq_u16_e32 vcc_lo, 0, v2
	s_or_b32 s0, vcc_lo, s0
	s_and_not1_b32 exec_lo, exec_lo, s0
	s_cbranch_execnz .LBB1_27
; %bb.28:
	s_or_b32 exec_lo, exec_lo, s0
	v_cmp_ne_u32_e64 s0, -1, s33
	s_delay_alu instid0(VALU_DEP_1)
	s_and_b32 vcc_lo, exec_lo, s0
	s_cbranch_vccz .LBB1_113
; %bb.29:
	v_subrev_nc_u32_e32 v28, s33, v0
	v_dual_mov_b32 v9, 0 :: v_dual_and_b32 v36, 2, v6
	v_dual_mov_b32 v1, v7 :: v_dual_and_b32 v0, -3, v6
	s_delay_alu instid0(VALU_DEP_3)
	v_ashrrev_i32_e32 v29, 31, v28
	v_dual_mov_b32 v37, s33 :: v_dual_mov_b32 v10, 2
	v_mov_b32_e32 v11, 1
	s_mov_b32 s11, 0
	s_mov_b32 s10, 0
	s_branch .LBB1_31
.LBB1_30:                               ;   in Loop: Header=BB1_31 Depth=1
	s_or_b32 exec_lo, exec_lo, s1
	v_sub_co_u32 v28, vcc_lo, v28, v30
	v_sub_co_ci_u32_e32 v29, vcc_lo, v29, v31, vcc_lo
	v_add_nc_u32_e32 v37, v37, v30
	s_delay_alu instid0(VALU_DEP_2) | instskip(SKIP_1) | instid1(SALU_CYCLE_1)
	v_cmp_eq_u64_e32 vcc_lo, 0, v[28:29]
	s_or_b32 s10, vcc_lo, s10
	s_and_not1_b32 exec_lo, exec_lo, s10
	s_cbranch_execz .LBB1_114
.LBB1_31:                               ; =>This Loop Header: Depth=1
                                        ;     Child Loop BB1_34 Depth 2
                                        ;     Child Loop BB1_42 Depth 2
	;; [unrolled: 1-line block ×11, first 2 shown]
	v_cmp_gt_u64_e32 vcc_lo, 56, v[28:29]
	s_mov_b32 s4, exec_lo
                                        ; implicit-def: $vgpr2_vgpr3
                                        ; implicit-def: $sgpr1
	v_dual_cndmask_b32 v31, 0, v29 :: v_dual_cndmask_b32 v30, 56, v28
	v_cmpx_gt_u64_e32 8, v[28:29]
	s_xor_b32 s4, exec_lo, s4
	s_cbranch_execz .LBB1_37
; %bb.32:                               ;   in Loop: Header=BB1_31 Depth=1
	s_waitcnt vmcnt(0)
	v_mov_b32_e32 v2, 0
	v_mov_b32_e32 v3, 0
	s_mov_b64 s[0:1], 0
	s_mov_b32 s5, exec_lo
	v_cmpx_ne_u64_e32 0, v[28:29]
	s_cbranch_execz .LBB1_36
; %bb.33:                               ;   in Loop: Header=BB1_31 Depth=1
	v_lshlrev_b64 v[12:13], 3, v[30:31]
	v_mov_b32_e32 v2, 0
	v_dual_mov_b32 v3, 0 :: v_dual_mov_b32 v8, v37
	s_mov_b32 s6, 0
.LBB1_34:                               ;   Parent Loop BB1_31 Depth=1
                                        ; =>  This Inner Loop Header: Depth=2
	scratch_load_u8 v13, v8, off
	v_mov_b32_e32 v14, s11
	v_add_nc_u32_e32 v8, 1, v8
	s_waitcnt vmcnt(0)
	v_and_b32_e32 v13, 0xffff, v13
	s_delay_alu instid0(VALU_DEP_1) | instskip(SKIP_3) | instid1(VALU_DEP_2)
	v_lshlrev_b64 v[13:14], s0, v[13:14]
	s_add_u32 s0, s0, 8
	s_addc_u32 s1, s1, 0
	v_cmp_eq_u32_e32 vcc_lo, s0, v12
	v_or_b32_e32 v3, v14, v3
	s_delay_alu instid0(VALU_DEP_3) | instskip(SKIP_1) | instid1(SALU_CYCLE_1)
	v_or_b32_e32 v2, v13, v2
	s_or_b32 s6, vcc_lo, s6
	s_and_not1_b32 exec_lo, exec_lo, s6
	s_cbranch_execnz .LBB1_34
; %bb.35:                               ;   in Loop: Header=BB1_31 Depth=1
	s_or_b32 exec_lo, exec_lo, s6
.LBB1_36:                               ;   in Loop: Header=BB1_31 Depth=1
	s_delay_alu instid0(SALU_CYCLE_1)
	s_or_b32 exec_lo, exec_lo, s5
	s_mov_b32 s1, 0
.LBB1_37:                               ;   in Loop: Header=BB1_31 Depth=1
	s_or_saveexec_b32 s0, s4
	v_mov_b32_e32 v14, s1
	v_mov_b32_e32 v8, v37
	s_xor_b32 exec_lo, exec_lo, s0
	s_cbranch_execz .LBB1_39
; %bb.38:                               ;   in Loop: Header=BB1_31 Depth=1
	scratch_load_b64 v[2:3], v37, off
	v_add_nc_u32_e32 v14, -8, v30
	s_waitcnt vmcnt(0)
	v_and_b32_e32 v8, 0xff, v3
	v_and_b32_e32 v12, 0xff00, v3
	;; [unrolled: 1-line block ×4, first 2 shown]
	v_or3_b32 v2, v2, 0, 0
	s_delay_alu instid0(VALU_DEP_4) | instskip(NEXT) | instid1(VALU_DEP_1)
	v_or_b32_e32 v8, v8, v12
	v_or3_b32 v3, v8, v13, v3
	v_add_nc_u32_e32 v8, 8, v37
.LBB1_39:                               ;   in Loop: Header=BB1_31 Depth=1
	s_or_b32 exec_lo, exec_lo, s0
                                        ; implicit-def: $vgpr12_vgpr13
                                        ; implicit-def: $sgpr1
	s_delay_alu instid0(SALU_CYCLE_1)
	s_mov_b32 s0, exec_lo
	v_cmpx_gt_u32_e32 8, v14
	s_xor_b32 s4, exec_lo, s0
	s_cbranch_execz .LBB1_45
; %bb.40:                               ;   in Loop: Header=BB1_31 Depth=1
	v_mov_b32_e32 v12, 0
	v_mov_b32_e32 v13, 0
	s_mov_b32 s5, exec_lo
	v_cmpx_ne_u32_e32 0, v14
	s_cbranch_execz .LBB1_44
; %bb.41:                               ;   in Loop: Header=BB1_31 Depth=1
	v_mov_b32_e32 v12, 0
	v_mov_b32_e32 v13, 0
	s_mov_b64 s[0:1], 0
	s_mov_b32 s6, 0
	s_mov_b32 s7, 0
	.p2align	6
.LBB1_42:                               ;   Parent Loop BB1_31 Depth=1
                                        ; =>  This Inner Loop Header: Depth=2
	s_delay_alu instid0(SALU_CYCLE_1) | instskip(SKIP_1) | instid1(SALU_CYCLE_1)
	v_dual_mov_b32 v16, s11 :: v_dual_add_nc_u32 v15, s7, v8
	s_add_i32 s7, s7, 1
	v_cmp_eq_u32_e32 vcc_lo, s7, v14
	scratch_load_u8 v15, v15, off
	s_waitcnt vmcnt(0)
	v_and_b32_e32 v15, 0xffff, v15
	s_delay_alu instid0(VALU_DEP_1) | instskip(SKIP_3) | instid1(VALU_DEP_1)
	v_lshlrev_b64 v[15:16], s0, v[15:16]
	s_add_u32 s0, s0, 8
	s_addc_u32 s1, s1, 0
	s_or_b32 s6, vcc_lo, s6
	v_or_b32_e32 v13, v16, v13
	s_delay_alu instid0(VALU_DEP_2)
	v_or_b32_e32 v12, v15, v12
	s_and_not1_b32 exec_lo, exec_lo, s6
	s_cbranch_execnz .LBB1_42
; %bb.43:                               ;   in Loop: Header=BB1_31 Depth=1
	s_or_b32 exec_lo, exec_lo, s6
.LBB1_44:                               ;   in Loop: Header=BB1_31 Depth=1
	s_delay_alu instid0(SALU_CYCLE_1)
	s_or_b32 exec_lo, exec_lo, s5
	s_mov_b32 s1, 0
                                        ; implicit-def: $vgpr14
.LBB1_45:                               ;   in Loop: Header=BB1_31 Depth=1
	s_or_saveexec_b32 s0, s4
	v_mov_b32_e32 v16, s1
	s_xor_b32 exec_lo, exec_lo, s0
	s_cbranch_execz .LBB1_47
; %bb.46:                               ;   in Loop: Header=BB1_31 Depth=1
	scratch_load_b64 v[12:13], v8, off
	v_add_nc_u32_e32 v8, 8, v8
	s_waitcnt vmcnt(0)
	v_and_b32_e32 v15, 0xff, v13
	v_and_b32_e32 v16, 0xff00, v13
	;; [unrolled: 1-line block ×4, first 2 shown]
	v_or3_b32 v12, v12, 0, 0
	s_delay_alu instid0(VALU_DEP_4) | instskip(SKIP_1) | instid1(VALU_DEP_2)
	v_or_b32_e32 v15, v15, v16
	v_add_nc_u32_e32 v16, -8, v14
	v_or3_b32 v13, v15, v17, v13
.LBB1_47:                               ;   in Loop: Header=BB1_31 Depth=1
	s_or_b32 exec_lo, exec_lo, s0
                                        ; implicit-def: $sgpr1
	s_delay_alu instid0(SALU_CYCLE_1) | instskip(NEXT) | instid1(VALU_DEP_1)
	s_mov_b32 s0, exec_lo
	v_cmpx_gt_u32_e32 8, v16
	s_xor_b32 s4, exec_lo, s0
	s_cbranch_execz .LBB1_53
; %bb.48:                               ;   in Loop: Header=BB1_31 Depth=1
	v_mov_b32_e32 v14, 0
	v_mov_b32_e32 v15, 0
	s_mov_b32 s5, exec_lo
	v_cmpx_ne_u32_e32 0, v16
	s_cbranch_execz .LBB1_52
; %bb.49:                               ;   in Loop: Header=BB1_31 Depth=1
	v_mov_b32_e32 v14, 0
	v_mov_b32_e32 v15, 0
	s_mov_b64 s[0:1], 0
	s_mov_b32 s6, 0
	s_mov_b32 s7, 0
	.p2align	6
.LBB1_50:                               ;   Parent Loop BB1_31 Depth=1
                                        ; =>  This Inner Loop Header: Depth=2
	s_delay_alu instid0(SALU_CYCLE_1) | instskip(SKIP_1) | instid1(SALU_CYCLE_1)
	v_dual_mov_b32 v18, s11 :: v_dual_add_nc_u32 v17, s7, v8
	s_add_i32 s7, s7, 1
	v_cmp_eq_u32_e32 vcc_lo, s7, v16
	scratch_load_u8 v17, v17, off
	s_waitcnt vmcnt(0)
	v_and_b32_e32 v17, 0xffff, v17
	s_delay_alu instid0(VALU_DEP_1) | instskip(SKIP_3) | instid1(VALU_DEP_1)
	v_lshlrev_b64 v[17:18], s0, v[17:18]
	s_add_u32 s0, s0, 8
	s_addc_u32 s1, s1, 0
	s_or_b32 s6, vcc_lo, s6
	v_or_b32_e32 v15, v18, v15
	s_delay_alu instid0(VALU_DEP_2)
	v_or_b32_e32 v14, v17, v14
	s_and_not1_b32 exec_lo, exec_lo, s6
	s_cbranch_execnz .LBB1_50
; %bb.51:                               ;   in Loop: Header=BB1_31 Depth=1
	s_or_b32 exec_lo, exec_lo, s6
.LBB1_52:                               ;   in Loop: Header=BB1_31 Depth=1
	s_delay_alu instid0(SALU_CYCLE_1)
	s_or_b32 exec_lo, exec_lo, s5
	s_mov_b32 s1, 0
                                        ; implicit-def: $vgpr16
.LBB1_53:                               ;   in Loop: Header=BB1_31 Depth=1
	s_or_saveexec_b32 s0, s4
	v_mov_b32_e32 v18, s1
	s_xor_b32 exec_lo, exec_lo, s0
	s_cbranch_execz .LBB1_55
; %bb.54:                               ;   in Loop: Header=BB1_31 Depth=1
	scratch_load_b64 v[14:15], v8, off
	v_add_nc_u32_e32 v8, 8, v8
	s_waitcnt vmcnt(0)
	v_and_b32_e32 v17, 0xff, v15
	v_and_b32_e32 v18, 0xff00, v15
	;; [unrolled: 1-line block ×4, first 2 shown]
	v_or3_b32 v14, v14, 0, 0
	s_delay_alu instid0(VALU_DEP_4) | instskip(SKIP_1) | instid1(VALU_DEP_2)
	v_or_b32_e32 v17, v17, v18
	v_add_nc_u32_e32 v18, -8, v16
	v_or3_b32 v15, v17, v19, v15
.LBB1_55:                               ;   in Loop: Header=BB1_31 Depth=1
	s_or_b32 exec_lo, exec_lo, s0
                                        ; implicit-def: $vgpr16_vgpr17
                                        ; implicit-def: $sgpr1
	s_delay_alu instid0(SALU_CYCLE_1) | instskip(NEXT) | instid1(VALU_DEP_1)
	s_mov_b32 s0, exec_lo
	v_cmpx_gt_u32_e32 8, v18
	s_xor_b32 s4, exec_lo, s0
	s_cbranch_execz .LBB1_61
; %bb.56:                               ;   in Loop: Header=BB1_31 Depth=1
	v_mov_b32_e32 v16, 0
	v_mov_b32_e32 v17, 0
	s_mov_b32 s5, exec_lo
	v_cmpx_ne_u32_e32 0, v18
	s_cbranch_execz .LBB1_60
; %bb.57:                               ;   in Loop: Header=BB1_31 Depth=1
	v_mov_b32_e32 v16, 0
	v_mov_b32_e32 v17, 0
	s_mov_b64 s[0:1], 0
	s_mov_b32 s6, 0
	s_mov_b32 s7, 0
	.p2align	6
.LBB1_58:                               ;   Parent Loop BB1_31 Depth=1
                                        ; =>  This Inner Loop Header: Depth=2
	s_delay_alu instid0(SALU_CYCLE_1) | instskip(SKIP_1) | instid1(SALU_CYCLE_1)
	v_dual_mov_b32 v20, s11 :: v_dual_add_nc_u32 v19, s7, v8
	s_add_i32 s7, s7, 1
	v_cmp_eq_u32_e32 vcc_lo, s7, v18
	scratch_load_u8 v19, v19, off
	s_waitcnt vmcnt(0)
	v_and_b32_e32 v19, 0xffff, v19
	s_delay_alu instid0(VALU_DEP_1) | instskip(SKIP_3) | instid1(VALU_DEP_1)
	v_lshlrev_b64 v[19:20], s0, v[19:20]
	s_add_u32 s0, s0, 8
	s_addc_u32 s1, s1, 0
	s_or_b32 s6, vcc_lo, s6
	v_or_b32_e32 v17, v20, v17
	s_delay_alu instid0(VALU_DEP_2)
	v_or_b32_e32 v16, v19, v16
	s_and_not1_b32 exec_lo, exec_lo, s6
	s_cbranch_execnz .LBB1_58
; %bb.59:                               ;   in Loop: Header=BB1_31 Depth=1
	s_or_b32 exec_lo, exec_lo, s6
.LBB1_60:                               ;   in Loop: Header=BB1_31 Depth=1
	s_delay_alu instid0(SALU_CYCLE_1)
	s_or_b32 exec_lo, exec_lo, s5
	s_mov_b32 s1, 0
                                        ; implicit-def: $vgpr18
.LBB1_61:                               ;   in Loop: Header=BB1_31 Depth=1
	s_or_saveexec_b32 s0, s4
	v_mov_b32_e32 v20, s1
	s_xor_b32 exec_lo, exec_lo, s0
	s_cbranch_execz .LBB1_63
; %bb.62:                               ;   in Loop: Header=BB1_31 Depth=1
	scratch_load_b64 v[16:17], v8, off
	v_add_nc_u32_e32 v8, 8, v8
	s_waitcnt vmcnt(0)
	v_and_b32_e32 v19, 0xff, v17
	v_and_b32_e32 v20, 0xff00, v17
	v_and_b32_e32 v21, 0xff0000, v17
	v_and_b32_e32 v17, 0xff000000, v17
	v_or3_b32 v16, v16, 0, 0
	s_delay_alu instid0(VALU_DEP_4) | instskip(SKIP_1) | instid1(VALU_DEP_2)
	v_or_b32_e32 v19, v19, v20
	v_add_nc_u32_e32 v20, -8, v18
	v_or3_b32 v17, v19, v21, v17
.LBB1_63:                               ;   in Loop: Header=BB1_31 Depth=1
	s_or_b32 exec_lo, exec_lo, s0
                                        ; implicit-def: $sgpr1
	s_delay_alu instid0(SALU_CYCLE_1) | instskip(NEXT) | instid1(VALU_DEP_1)
	s_mov_b32 s0, exec_lo
	v_cmpx_gt_u32_e32 8, v20
	s_xor_b32 s4, exec_lo, s0
	s_cbranch_execz .LBB1_69
; %bb.64:                               ;   in Loop: Header=BB1_31 Depth=1
	v_mov_b32_e32 v18, 0
	v_mov_b32_e32 v19, 0
	s_mov_b32 s5, exec_lo
	v_cmpx_ne_u32_e32 0, v20
	s_cbranch_execz .LBB1_68
; %bb.65:                               ;   in Loop: Header=BB1_31 Depth=1
	v_mov_b32_e32 v18, 0
	v_mov_b32_e32 v19, 0
	s_mov_b64 s[0:1], 0
	s_mov_b32 s6, 0
	s_mov_b32 s7, 0
	.p2align	6
.LBB1_66:                               ;   Parent Loop BB1_31 Depth=1
                                        ; =>  This Inner Loop Header: Depth=2
	s_delay_alu instid0(SALU_CYCLE_1) | instskip(SKIP_1) | instid1(SALU_CYCLE_1)
	v_dual_mov_b32 v22, s11 :: v_dual_add_nc_u32 v21, s7, v8
	s_add_i32 s7, s7, 1
	v_cmp_eq_u32_e32 vcc_lo, s7, v20
	scratch_load_u8 v21, v21, off
	s_waitcnt vmcnt(0)
	v_and_b32_e32 v21, 0xffff, v21
	s_delay_alu instid0(VALU_DEP_1) | instskip(SKIP_3) | instid1(VALU_DEP_1)
	v_lshlrev_b64 v[21:22], s0, v[21:22]
	s_add_u32 s0, s0, 8
	s_addc_u32 s1, s1, 0
	s_or_b32 s6, vcc_lo, s6
	v_or_b32_e32 v19, v22, v19
	s_delay_alu instid0(VALU_DEP_2)
	v_or_b32_e32 v18, v21, v18
	s_and_not1_b32 exec_lo, exec_lo, s6
	s_cbranch_execnz .LBB1_66
; %bb.67:                               ;   in Loop: Header=BB1_31 Depth=1
	s_or_b32 exec_lo, exec_lo, s6
.LBB1_68:                               ;   in Loop: Header=BB1_31 Depth=1
	s_delay_alu instid0(SALU_CYCLE_1)
	s_or_b32 exec_lo, exec_lo, s5
	s_mov_b32 s1, 0
                                        ; implicit-def: $vgpr20
.LBB1_69:                               ;   in Loop: Header=BB1_31 Depth=1
	s_or_saveexec_b32 s0, s4
	v_mov_b32_e32 v22, s1
	s_xor_b32 exec_lo, exec_lo, s0
	s_cbranch_execz .LBB1_71
; %bb.70:                               ;   in Loop: Header=BB1_31 Depth=1
	scratch_load_b64 v[18:19], v8, off
	v_add_nc_u32_e32 v8, 8, v8
	s_waitcnt vmcnt(0)
	v_and_b32_e32 v21, 0xff, v19
	v_and_b32_e32 v22, 0xff00, v19
	v_and_b32_e32 v23, 0xff0000, v19
	v_and_b32_e32 v19, 0xff000000, v19
	v_or3_b32 v18, v18, 0, 0
	s_delay_alu instid0(VALU_DEP_4) | instskip(SKIP_1) | instid1(VALU_DEP_2)
	v_or_b32_e32 v21, v21, v22
	v_add_nc_u32_e32 v22, -8, v20
	v_or3_b32 v19, v21, v23, v19
.LBB1_71:                               ;   in Loop: Header=BB1_31 Depth=1
	s_or_b32 exec_lo, exec_lo, s0
                                        ; implicit-def: $vgpr20_vgpr21
                                        ; implicit-def: $sgpr1
	s_delay_alu instid0(SALU_CYCLE_1) | instskip(NEXT) | instid1(VALU_DEP_1)
	s_mov_b32 s0, exec_lo
	v_cmpx_gt_u32_e32 8, v22
	s_xor_b32 s4, exec_lo, s0
	s_cbranch_execz .LBB1_77
; %bb.72:                               ;   in Loop: Header=BB1_31 Depth=1
	v_mov_b32_e32 v20, 0
	v_mov_b32_e32 v21, 0
	s_mov_b32 s5, exec_lo
	v_cmpx_ne_u32_e32 0, v22
	s_cbranch_execz .LBB1_76
; %bb.73:                               ;   in Loop: Header=BB1_31 Depth=1
	v_mov_b32_e32 v20, 0
	v_mov_b32_e32 v21, 0
	s_mov_b64 s[0:1], 0
	s_mov_b32 s6, 0
	s_mov_b32 s7, 0
	.p2align	6
.LBB1_74:                               ;   Parent Loop BB1_31 Depth=1
                                        ; =>  This Inner Loop Header: Depth=2
	s_delay_alu instid0(SALU_CYCLE_1) | instskip(SKIP_1) | instid1(SALU_CYCLE_1)
	v_dual_mov_b32 v24, s11 :: v_dual_add_nc_u32 v23, s7, v8
	s_add_i32 s7, s7, 1
	v_cmp_eq_u32_e32 vcc_lo, s7, v22
	scratch_load_u8 v23, v23, off
	s_waitcnt vmcnt(0)
	v_and_b32_e32 v23, 0xffff, v23
	s_delay_alu instid0(VALU_DEP_1) | instskip(SKIP_3) | instid1(VALU_DEP_1)
	v_lshlrev_b64 v[23:24], s0, v[23:24]
	s_add_u32 s0, s0, 8
	s_addc_u32 s1, s1, 0
	s_or_b32 s6, vcc_lo, s6
	v_or_b32_e32 v21, v24, v21
	s_delay_alu instid0(VALU_DEP_2)
	v_or_b32_e32 v20, v23, v20
	s_and_not1_b32 exec_lo, exec_lo, s6
	s_cbranch_execnz .LBB1_74
; %bb.75:                               ;   in Loop: Header=BB1_31 Depth=1
	s_or_b32 exec_lo, exec_lo, s6
.LBB1_76:                               ;   in Loop: Header=BB1_31 Depth=1
	s_delay_alu instid0(SALU_CYCLE_1)
	s_or_b32 exec_lo, exec_lo, s5
	s_mov_b32 s1, 0
                                        ; implicit-def: $vgpr22
.LBB1_77:                               ;   in Loop: Header=BB1_31 Depth=1
	s_or_saveexec_b32 s0, s4
	v_mov_b32_e32 v24, s1
	s_xor_b32 exec_lo, exec_lo, s0
	s_cbranch_execz .LBB1_79
; %bb.78:                               ;   in Loop: Header=BB1_31 Depth=1
	scratch_load_b64 v[20:21], v8, off
	v_add_nc_u32_e32 v8, 8, v8
	s_waitcnt vmcnt(0)
	v_and_b32_e32 v23, 0xff, v21
	v_and_b32_e32 v24, 0xff00, v21
	;; [unrolled: 1-line block ×4, first 2 shown]
	v_or3_b32 v20, v20, 0, 0
	s_delay_alu instid0(VALU_DEP_4) | instskip(SKIP_1) | instid1(VALU_DEP_2)
	v_or_b32_e32 v23, v23, v24
	v_add_nc_u32_e32 v24, -8, v22
	v_or3_b32 v21, v23, v25, v21
.LBB1_79:                               ;   in Loop: Header=BB1_31 Depth=1
	s_or_b32 exec_lo, exec_lo, s0
	s_delay_alu instid0(SALU_CYCLE_1) | instskip(NEXT) | instid1(VALU_DEP_1)
	s_mov_b32 s0, exec_lo
	v_cmpx_gt_u32_e32 8, v24
	s_xor_b32 s4, exec_lo, s0
	s_cbranch_execz .LBB1_85
; %bb.80:                               ;   in Loop: Header=BB1_31 Depth=1
	v_mov_b32_e32 v22, 0
	v_mov_b32_e32 v23, 0
	s_mov_b32 s5, exec_lo
	v_cmpx_ne_u32_e32 0, v24
	s_cbranch_execz .LBB1_84
; %bb.81:                               ;   in Loop: Header=BB1_31 Depth=1
	v_mov_b32_e32 v22, 0
	v_mov_b32_e32 v23, 0
	s_mov_b64 s[0:1], 0
	s_mov_b32 s6, 0
	.p2align	6
.LBB1_82:                               ;   Parent Loop BB1_31 Depth=1
                                        ; =>  This Inner Loop Header: Depth=2
	scratch_load_u8 v25, v8, off
	v_mov_b32_e32 v26, s11
	v_add_nc_u32_e32 v24, -1, v24
	v_add_nc_u32_e32 v8, 1, v8
	s_delay_alu instid0(VALU_DEP_2) | instskip(SKIP_2) | instid1(VALU_DEP_1)
	v_cmp_eq_u32_e32 vcc_lo, 0, v24
	s_waitcnt vmcnt(0)
	v_and_b32_e32 v25, 0xffff, v25
	v_lshlrev_b64 v[25:26], s0, v[25:26]
	s_add_u32 s0, s0, 8
	s_addc_u32 s1, s1, 0
	s_or_b32 s6, vcc_lo, s6
	s_delay_alu instid0(VALU_DEP_1) | instskip(NEXT) | instid1(VALU_DEP_2)
	v_or_b32_e32 v23, v26, v23
	v_or_b32_e32 v22, v25, v22
	s_and_not1_b32 exec_lo, exec_lo, s6
	s_cbranch_execnz .LBB1_82
; %bb.83:                               ;   in Loop: Header=BB1_31 Depth=1
	s_or_b32 exec_lo, exec_lo, s6
.LBB1_84:                               ;   in Loop: Header=BB1_31 Depth=1
	s_delay_alu instid0(SALU_CYCLE_1)
	s_or_b32 exec_lo, exec_lo, s5
                                        ; implicit-def: $vgpr8
.LBB1_85:                               ;   in Loop: Header=BB1_31 Depth=1
	s_and_not1_saveexec_b32 s0, s4
	s_cbranch_execz .LBB1_87
; %bb.86:                               ;   in Loop: Header=BB1_31 Depth=1
	scratch_load_b64 v[22:23], v8, off
	s_waitcnt vmcnt(0)
	v_and_b32_e32 v8, 0xff, v23
	v_and_b32_e32 v24, 0xff00, v23
	v_and_b32_e32 v25, 0xff0000, v23
	v_and_b32_e32 v23, 0xff000000, v23
	v_or3_b32 v22, v22, 0, 0
	s_delay_alu instid0(VALU_DEP_4) | instskip(NEXT) | instid1(VALU_DEP_1)
	v_or_b32_e32 v8, v8, v24
	v_or3_b32 v23, v8, v25, v23
.LBB1_87:                               ;   in Loop: Header=BB1_31 Depth=1
	s_or_b32 exec_lo, exec_lo, s0
	v_readfirstlane_b32 s0, v35
	v_mov_b32_e32 v32, 0
	v_mov_b32_e32 v33, 0
	s_delay_alu instid0(VALU_DEP_3) | instskip(NEXT) | instid1(VALU_DEP_1)
	v_cmp_eq_u32_e64 s0, s0, v35
	s_and_saveexec_b32 s1, s0
	s_cbranch_execz .LBB1_93
; %bb.88:                               ;   in Loop: Header=BB1_31 Depth=1
	global_load_b64 v[26:27], v9, s[2:3] offset:24 glc
	s_waitcnt vmcnt(0)
	buffer_gl1_inv
	buffer_gl0_inv
	s_clause 0x1
	global_load_b64 v[24:25], v9, s[2:3] offset:40
	global_load_b64 v[32:33], v9, s[2:3]
	s_mov_b32 s4, exec_lo
	s_waitcnt vmcnt(1)
	v_and_b32_e32 v8, v25, v27
	v_and_b32_e32 v24, v24, v26
	s_delay_alu instid0(VALU_DEP_2) | instskip(NEXT) | instid1(VALU_DEP_2)
	v_mul_lo_u32 v8, v8, 24
	v_mul_hi_u32 v25, v24, 24
	v_mul_lo_u32 v24, v24, 24
	s_delay_alu instid0(VALU_DEP_2) | instskip(SKIP_1) | instid1(VALU_DEP_2)
	v_add_nc_u32_e32 v8, v25, v8
	s_waitcnt vmcnt(0)
	v_add_co_u32 v24, vcc_lo, v32, v24
	s_delay_alu instid0(VALU_DEP_2)
	v_add_co_ci_u32_e32 v25, vcc_lo, v33, v8, vcc_lo
	global_load_b64 v[24:25], v[24:25], off glc
	s_waitcnt vmcnt(0)
	global_atomic_cmpswap_b64 v[32:33], v9, v[24:27], s[2:3] offset:24 glc
	s_waitcnt vmcnt(0)
	buffer_gl1_inv
	buffer_gl0_inv
	v_cmpx_ne_u64_e64 v[32:33], v[26:27]
	s_cbranch_execz .LBB1_92
; %bb.89:                               ;   in Loop: Header=BB1_31 Depth=1
	s_mov_b32 s5, 0
	.p2align	6
.LBB1_90:                               ;   Parent Loop BB1_31 Depth=1
                                        ; =>  This Inner Loop Header: Depth=2
	s_sleep 1
	s_clause 0x1
	global_load_b64 v[24:25], v9, s[2:3] offset:40
	global_load_b64 v[38:39], v9, s[2:3]
	v_dual_mov_b32 v26, v32 :: v_dual_mov_b32 v27, v33
	s_waitcnt vmcnt(1)
	s_delay_alu instid0(VALU_DEP_1) | instskip(SKIP_1) | instid1(VALU_DEP_1)
	v_and_b32_e32 v8, v24, v26
	s_waitcnt vmcnt(0)
	v_mad_u64_u32 v[32:33], null, v8, 24, v[38:39]
	v_and_b32_e32 v38, v25, v27
	s_delay_alu instid0(VALU_DEP_2) | instskip(NEXT) | instid1(VALU_DEP_1)
	v_mov_b32_e32 v8, v33
	v_mad_u64_u32 v[24:25], null, v38, 24, v[8:9]
	s_delay_alu instid0(VALU_DEP_1)
	v_mov_b32_e32 v33, v24
	global_load_b64 v[24:25], v[32:33], off glc
	s_waitcnt vmcnt(0)
	global_atomic_cmpswap_b64 v[32:33], v9, v[24:27], s[2:3] offset:24 glc
	s_waitcnt vmcnt(0)
	buffer_gl1_inv
	buffer_gl0_inv
	v_cmp_eq_u64_e32 vcc_lo, v[32:33], v[26:27]
	s_or_b32 s5, vcc_lo, s5
	s_delay_alu instid0(SALU_CYCLE_1)
	s_and_not1_b32 exec_lo, exec_lo, s5
	s_cbranch_execnz .LBB1_90
; %bb.91:                               ;   in Loop: Header=BB1_31 Depth=1
	s_or_b32 exec_lo, exec_lo, s5
.LBB1_92:                               ;   in Loop: Header=BB1_31 Depth=1
	s_delay_alu instid0(SALU_CYCLE_1)
	s_or_b32 exec_lo, exec_lo, s4
.LBB1_93:                               ;   in Loop: Header=BB1_31 Depth=1
	s_delay_alu instid0(SALU_CYCLE_1)
	s_or_b32 exec_lo, exec_lo, s1
	s_clause 0x1
	global_load_b64 v[38:39], v9, s[2:3] offset:40
	global_load_b128 v[24:27], v9, s[2:3]
	v_readfirstlane_b32 s4, v32
	v_readfirstlane_b32 s5, v33
	s_mov_b32 s1, exec_lo
	s_waitcnt vmcnt(1)
	v_readfirstlane_b32 s6, v38
	v_readfirstlane_b32 s7, v39
	s_delay_alu instid0(VALU_DEP_1) | instskip(NEXT) | instid1(SALU_CYCLE_1)
	s_and_b64 s[6:7], s[4:5], s[6:7]
	s_mul_i32 s12, s7, 24
	s_mul_hi_u32 s13, s6, 24
	s_mul_i32 s14, s6, 24
	s_add_i32 s13, s13, s12
	s_waitcnt vmcnt(0)
	v_add_co_u32 v32, vcc_lo, v24, s14
	v_add_co_ci_u32_e32 v33, vcc_lo, s13, v25, vcc_lo
	s_and_saveexec_b32 s12, s0
	s_cbranch_execz .LBB1_95
; %bb.94:                               ;   in Loop: Header=BB1_31 Depth=1
	v_mov_b32_e32 v8, s1
	global_store_b128 v[32:33], v[8:11], off offset:8
.LBB1_95:                               ;   in Loop: Header=BB1_31 Depth=1
	s_or_b32 exec_lo, exec_lo, s12
	v_cmp_lt_u64_e32 vcc_lo, 56, v[28:29]
	v_or_b32_e32 v8, 0, v1
	v_or_b32_e32 v38, v0, v36
	v_lshl_add_u32 v39, v30, 2, 28
	s_lshl_b64 s[6:7], s[6:7], 12
	s_delay_alu instid0(SALU_CYCLE_1) | instskip(NEXT) | instid1(VALU_DEP_1)
	v_add_co_u32 v26, s1, v26, s6
	v_add_co_ci_u32_e64 v27, s1, s7, v27, s1
	v_dual_cndmask_b32 v1, v8, v1 :: v_dual_cndmask_b32 v0, v38, v0
	v_and_b32_e32 v8, 0x1e0, v39
	s_delay_alu instid0(VALU_DEP_4) | instskip(NEXT) | instid1(VALU_DEP_4)
	v_readfirstlane_b32 s6, v26
	v_readfirstlane_b32 s7, v27
	s_delay_alu instid0(VALU_DEP_3)
	v_and_or_b32 v0, 0xffffff1f, v0, v8
	s_clause 0x3
	global_store_b128 v34, v[0:3], s[6:7]
	global_store_b128 v34, v[12:15], s[6:7] offset:16
	global_store_b128 v34, v[16:19], s[6:7] offset:32
	;; [unrolled: 1-line block ×3, first 2 shown]
	s_and_saveexec_b32 s1, s0
	s_cbranch_execz .LBB1_103
; %bb.96:                               ;   in Loop: Header=BB1_31 Depth=1
	s_clause 0x1
	global_load_b64 v[16:17], v9, s[2:3] offset:32 glc
	global_load_b64 v[0:1], v9, s[2:3] offset:40
	v_dual_mov_b32 v14, s4 :: v_dual_mov_b32 v15, s5
	s_waitcnt vmcnt(0)
	v_readfirstlane_b32 s6, v0
	v_readfirstlane_b32 s7, v1
	s_delay_alu instid0(VALU_DEP_1) | instskip(NEXT) | instid1(SALU_CYCLE_1)
	s_and_b64 s[6:7], s[6:7], s[4:5]
	s_mul_i32 s7, s7, 24
	s_mul_hi_u32 s12, s6, 24
	s_mul_i32 s6, s6, 24
	s_add_i32 s12, s12, s7
	v_add_co_u32 v12, vcc_lo, v24, s6
	v_add_co_ci_u32_e32 v13, vcc_lo, s12, v25, vcc_lo
	s_mov_b32 s6, exec_lo
	global_store_b64 v[12:13], v[16:17], off
	s_waitcnt_vscnt null, 0x0
	global_atomic_cmpswap_b64 v[2:3], v9, v[14:17], s[2:3] offset:32 glc
	s_waitcnt vmcnt(0)
	v_cmpx_ne_u64_e64 v[2:3], v[16:17]
	s_cbranch_execz .LBB1_99
; %bb.97:                               ;   in Loop: Header=BB1_31 Depth=1
	s_mov_b32 s7, 0
.LBB1_98:                               ;   Parent Loop BB1_31 Depth=1
                                        ; =>  This Inner Loop Header: Depth=2
	v_dual_mov_b32 v0, s4 :: v_dual_mov_b32 v1, s5
	s_sleep 1
	global_store_b64 v[12:13], v[2:3], off
	s_waitcnt_vscnt null, 0x0
	global_atomic_cmpswap_b64 v[0:1], v9, v[0:3], s[2:3] offset:32 glc
	s_waitcnt vmcnt(0)
	v_cmp_eq_u64_e32 vcc_lo, v[0:1], v[2:3]
	v_dual_mov_b32 v3, v1 :: v_dual_mov_b32 v2, v0
	s_or_b32 s7, vcc_lo, s7
	s_delay_alu instid0(SALU_CYCLE_1)
	s_and_not1_b32 exec_lo, exec_lo, s7
	s_cbranch_execnz .LBB1_98
.LBB1_99:                               ;   in Loop: Header=BB1_31 Depth=1
	s_or_b32 exec_lo, exec_lo, s6
	global_load_b64 v[0:1], v9, s[2:3] offset:16
	s_mov_b32 s7, exec_lo
	s_mov_b32 s6, exec_lo
	v_mbcnt_lo_u32_b32 v2, s7, 0
	s_delay_alu instid0(VALU_DEP_1)
	v_cmpx_eq_u32_e32 0, v2
	s_cbranch_execz .LBB1_101
; %bb.100:                              ;   in Loop: Header=BB1_31 Depth=1
	s_bcnt1_i32_b32 s7, s7
	s_delay_alu instid0(SALU_CYCLE_1)
	v_mov_b32_e32 v8, s7
	s_waitcnt vmcnt(0)
	global_atomic_add_u64 v[0:1], v[8:9], off offset:8
.LBB1_101:                              ;   in Loop: Header=BB1_31 Depth=1
	s_or_b32 exec_lo, exec_lo, s6
	s_waitcnt vmcnt(0)
	global_load_b64 v[2:3], v[0:1], off offset:16
	s_waitcnt vmcnt(0)
	v_cmp_eq_u64_e32 vcc_lo, 0, v[2:3]
	s_cbranch_vccnz .LBB1_103
; %bb.102:                              ;   in Loop: Header=BB1_31 Depth=1
	global_load_b32 v8, v[0:1], off offset:24
	s_waitcnt vmcnt(0)
	v_and_b32_e32 v0, 0xffffff, v8
	s_waitcnt_vscnt null, 0x0
	global_store_b64 v[2:3], v[8:9], off
	v_readfirstlane_b32 m0, v0
	s_sendmsg sendmsg(MSG_INTERRUPT)
.LBB1_103:                              ;   in Loop: Header=BB1_31 Depth=1
	s_or_b32 exec_lo, exec_lo, s1
	v_add_co_u32 v0, vcc_lo, v26, v34
	v_add_co_ci_u32_e32 v1, vcc_lo, 0, v27, vcc_lo
	s_branch .LBB1_107
	.p2align	6
.LBB1_104:                              ;   in Loop: Header=BB1_107 Depth=2
	s_or_b32 exec_lo, exec_lo, s1
	s_delay_alu instid0(VALU_DEP_1) | instskip(NEXT) | instid1(VALU_DEP_1)
	v_readfirstlane_b32 s1, v2
	s_cmp_eq_u32 s1, 0
	s_cbranch_scc1 .LBB1_106
; %bb.105:                              ;   in Loop: Header=BB1_107 Depth=2
	s_sleep 1
	s_cbranch_execnz .LBB1_107
	s_branch .LBB1_109
	.p2align	6
.LBB1_106:                              ;   in Loop: Header=BB1_31 Depth=1
	s_branch .LBB1_109
.LBB1_107:                              ;   Parent Loop BB1_31 Depth=1
                                        ; =>  This Inner Loop Header: Depth=2
	v_mov_b32_e32 v2, 1
	s_and_saveexec_b32 s1, s0
	s_cbranch_execz .LBB1_104
; %bb.108:                              ;   in Loop: Header=BB1_107 Depth=2
	global_load_b32 v2, v[32:33], off offset:20 glc
	s_waitcnt vmcnt(0)
	buffer_gl1_inv
	buffer_gl0_inv
	v_and_b32_e32 v2, 1, v2
	s_branch .LBB1_104
.LBB1_109:                              ;   in Loop: Header=BB1_31 Depth=1
	global_load_b128 v[0:3], v[0:1], off
	s_and_saveexec_b32 s1, s0
	s_cbranch_execz .LBB1_30
; %bb.110:                              ;   in Loop: Header=BB1_31 Depth=1
	s_clause 0x2
	global_load_b64 v[2:3], v9, s[2:3] offset:40
	global_load_b64 v[16:17], v9, s[2:3] offset:24 glc
	global_load_b64 v[14:15], v9, s[2:3]
	s_waitcnt vmcnt(2)
	v_add_co_u32 v8, vcc_lo, v2, 1
	v_add_co_ci_u32_e32 v18, vcc_lo, 0, v3, vcc_lo
	s_delay_alu instid0(VALU_DEP_2) | instskip(NEXT) | instid1(VALU_DEP_2)
	v_add_co_u32 v12, vcc_lo, v8, s4
	v_add_co_ci_u32_e32 v13, vcc_lo, s5, v18, vcc_lo
	s_delay_alu instid0(VALU_DEP_1) | instskip(SKIP_1) | instid1(VALU_DEP_1)
	v_cmp_eq_u64_e32 vcc_lo, 0, v[12:13]
	v_dual_cndmask_b32 v13, v13, v18 :: v_dual_cndmask_b32 v12, v12, v8
	v_and_b32_e32 v3, v13, v3
	s_delay_alu instid0(VALU_DEP_2) | instskip(NEXT) | instid1(VALU_DEP_1)
	v_and_b32_e32 v2, v12, v2
	v_mul_hi_u32 v8, v2, 24
	v_mul_lo_u32 v2, v2, 24
	s_waitcnt vmcnt(0)
	s_delay_alu instid0(VALU_DEP_1) | instskip(SKIP_2) | instid1(VALU_DEP_1)
	v_add_co_u32 v2, vcc_lo, v14, v2
	v_mov_b32_e32 v14, v16
	v_mul_lo_u32 v3, v3, 24
	v_add_nc_u32_e32 v3, v8, v3
	s_delay_alu instid0(VALU_DEP_1)
	v_add_co_ci_u32_e32 v3, vcc_lo, v15, v3, vcc_lo
	v_mov_b32_e32 v15, v17
	global_store_b64 v[2:3], v[16:17], off
	s_waitcnt_vscnt null, 0x0
	global_atomic_cmpswap_b64 v[14:15], v9, v[12:15], s[2:3] offset:24 glc
	s_waitcnt vmcnt(0)
	v_cmp_ne_u64_e32 vcc_lo, v[14:15], v[16:17]
	s_and_b32 exec_lo, exec_lo, vcc_lo
	s_cbranch_execz .LBB1_30
; %bb.111:                              ;   in Loop: Header=BB1_31 Depth=1
	s_mov_b32 s0, 0
.LBB1_112:                              ;   Parent Loop BB1_31 Depth=1
                                        ; =>  This Inner Loop Header: Depth=2
	s_sleep 1
	global_store_b64 v[2:3], v[14:15], off
	s_waitcnt_vscnt null, 0x0
	global_atomic_cmpswap_b64 v[16:17], v9, v[12:15], s[2:3] offset:24 glc
	s_waitcnt vmcnt(0)
	v_cmp_eq_u64_e32 vcc_lo, v[16:17], v[14:15]
	v_dual_mov_b32 v14, v16 :: v_dual_mov_b32 v15, v17
	s_or_b32 s0, vcc_lo, s0
	s_delay_alu instid0(SALU_CYCLE_1)
	s_and_not1_b32 exec_lo, exec_lo, s0
	s_cbranch_execnz .LBB1_112
	s_branch .LBB1_30
.LBB1_113:
                                        ; implicit-def: $vgpr0_vgpr1
	s_cbranch_execnz .LBB1_115
	s_branch .LBB1_142
.LBB1_114:
	s_or_b32 exec_lo, exec_lo, s10
	s_branch .LBB1_142
.LBB1_115:
	v_readfirstlane_b32 s0, v35
	v_mov_b32_e32 v9, 0
	v_mov_b32_e32 v10, 0
	s_delay_alu instid0(VALU_DEP_3) | instskip(NEXT) | instid1(VALU_DEP_1)
	v_cmp_eq_u32_e64 s0, s0, v35
	s_and_saveexec_b32 s1, s0
	s_cbranch_execz .LBB1_121
; %bb.116:
	s_waitcnt vmcnt(0)
	v_mov_b32_e32 v0, 0
	s_mov_b32 s4, exec_lo
	global_load_b64 v[11:12], v0, s[2:3] offset:24 glc
	s_waitcnt vmcnt(0)
	buffer_gl1_inv
	buffer_gl0_inv
	s_clause 0x1
	global_load_b64 v[1:2], v0, s[2:3] offset:40
	global_load_b64 v[8:9], v0, s[2:3]
	s_waitcnt vmcnt(1)
	v_and_b32_e32 v1, v1, v11
	v_and_b32_e32 v2, v2, v12
	s_delay_alu instid0(VALU_DEP_2) | instskip(NEXT) | instid1(VALU_DEP_2)
	v_mul_hi_u32 v3, v1, 24
	v_mul_lo_u32 v2, v2, 24
	v_mul_lo_u32 v1, v1, 24
	s_delay_alu instid0(VALU_DEP_2) | instskip(SKIP_1) | instid1(VALU_DEP_2)
	v_add_nc_u32_e32 v2, v3, v2
	s_waitcnt vmcnt(0)
	v_add_co_u32 v1, vcc_lo, v8, v1
	s_delay_alu instid0(VALU_DEP_2)
	v_add_co_ci_u32_e32 v2, vcc_lo, v9, v2, vcc_lo
	global_load_b64 v[9:10], v[1:2], off glc
	s_waitcnt vmcnt(0)
	global_atomic_cmpswap_b64 v[9:10], v0, v[9:12], s[2:3] offset:24 glc
	s_waitcnt vmcnt(0)
	buffer_gl1_inv
	buffer_gl0_inv
	v_cmpx_ne_u64_e64 v[9:10], v[11:12]
	s_cbranch_execz .LBB1_120
; %bb.117:
	s_mov_b32 s5, 0
	.p2align	6
.LBB1_118:                              ; =>This Inner Loop Header: Depth=1
	s_sleep 1
	s_clause 0x1
	global_load_b64 v[1:2], v0, s[2:3] offset:40
	global_load_b64 v[13:14], v0, s[2:3]
	v_dual_mov_b32 v12, v10 :: v_dual_mov_b32 v11, v9
	s_waitcnt vmcnt(1)
	s_delay_alu instid0(VALU_DEP_1) | instskip(SKIP_1) | instid1(VALU_DEP_1)
	v_and_b32_e32 v1, v1, v11
	s_waitcnt vmcnt(0)
	v_mad_u64_u32 v[8:9], null, v1, 24, v[13:14]
	s_delay_alu instid0(VALU_DEP_1) | instskip(NEXT) | instid1(VALU_DEP_1)
	v_dual_mov_b32 v1, v9 :: v_dual_and_b32 v10, v2, v12
	v_mad_u64_u32 v[2:3], null, v10, 24, v[1:2]
	s_delay_alu instid0(VALU_DEP_1)
	v_mov_b32_e32 v9, v2
	global_load_b64 v[9:10], v[8:9], off glc
	s_waitcnt vmcnt(0)
	global_atomic_cmpswap_b64 v[9:10], v0, v[9:12], s[2:3] offset:24 glc
	s_waitcnt vmcnt(0)
	buffer_gl1_inv
	buffer_gl0_inv
	v_cmp_eq_u64_e32 vcc_lo, v[9:10], v[11:12]
	s_or_b32 s5, vcc_lo, s5
	s_delay_alu instid0(SALU_CYCLE_1)
	s_and_not1_b32 exec_lo, exec_lo, s5
	s_cbranch_execnz .LBB1_118
; %bb.119:
	s_or_b32 exec_lo, exec_lo, s5
.LBB1_120:
	s_delay_alu instid0(SALU_CYCLE_1)
	s_or_b32 exec_lo, exec_lo, s4
.LBB1_121:
	s_delay_alu instid0(SALU_CYCLE_1)
	s_or_b32 exec_lo, exec_lo, s1
	v_mov_b32_e32 v8, 0
	v_readfirstlane_b32 s4, v9
	v_readfirstlane_b32 s5, v10
	s_mov_b32 s1, exec_lo
	s_clause 0x1
	global_load_b64 v[11:12], v8, s[2:3] offset:40
	global_load_b128 v[0:3], v8, s[2:3]
	s_waitcnt vmcnt(1)
	v_readfirstlane_b32 s6, v11
	v_readfirstlane_b32 s7, v12
	s_delay_alu instid0(VALU_DEP_1) | instskip(NEXT) | instid1(SALU_CYCLE_1)
	s_and_b64 s[6:7], s[4:5], s[6:7]
	s_mul_i32 s10, s7, 24
	s_mul_hi_u32 s11, s6, 24
	s_mul_i32 s12, s6, 24
	s_add_i32 s11, s11, s10
	s_waitcnt vmcnt(0)
	v_add_co_u32 v10, vcc_lo, v0, s12
	v_add_co_ci_u32_e32 v11, vcc_lo, s11, v1, vcc_lo
	s_and_saveexec_b32 s10, s0
	s_cbranch_execz .LBB1_123
; %bb.122:
	v_dual_mov_b32 v12, s1 :: v_dual_mov_b32 v13, v8
	v_dual_mov_b32 v14, 2 :: v_dual_mov_b32 v15, 1
	global_store_b128 v[10:11], v[12:15], off offset:8
.LBB1_123:
	s_or_b32 exec_lo, exec_lo, s10
	s_lshl_b64 s[6:7], s[6:7], 12
	s_mov_b32 s12, 0
	v_add_co_u32 v2, vcc_lo, v2, s6
	v_add_co_ci_u32_e32 v3, vcc_lo, s7, v3, vcc_lo
	s_mov_b32 s15, s12
	s_delay_alu instid0(VALU_DEP_2)
	v_add_co_u32 v12, vcc_lo, v2, v34
	s_mov_b32 s13, s12
	s_mov_b32 s14, s12
	v_and_or_b32 v6, 0xffffff1f, v6, 32
	v_mov_b32_e32 v9, v8
	v_readfirstlane_b32 s6, v2
	v_readfirstlane_b32 s7, v3
	v_dual_mov_b32 v17, s15 :: v_dual_mov_b32 v14, s12
	v_add_co_ci_u32_e32 v13, vcc_lo, 0, v3, vcc_lo
	v_dual_mov_b32 v16, s14 :: v_dual_mov_b32 v15, s13
	s_clause 0x3
	global_store_b128 v34, v[6:9], s[6:7]
	global_store_b128 v34, v[14:17], s[6:7] offset:16
	global_store_b128 v34, v[14:17], s[6:7] offset:32
	;; [unrolled: 1-line block ×3, first 2 shown]
	s_and_saveexec_b32 s1, s0
	s_cbranch_execz .LBB1_131
; %bb.124:
	v_dual_mov_b32 v8, 0 :: v_dual_mov_b32 v15, s5
	v_mov_b32_e32 v14, s4
	s_clause 0x1
	global_load_b64 v[16:17], v8, s[2:3] offset:32 glc
	global_load_b64 v[2:3], v8, s[2:3] offset:40
	s_waitcnt vmcnt(0)
	v_readfirstlane_b32 s6, v2
	v_readfirstlane_b32 s7, v3
	s_delay_alu instid0(VALU_DEP_1) | instskip(NEXT) | instid1(SALU_CYCLE_1)
	s_and_b64 s[6:7], s[6:7], s[4:5]
	s_mul_i32 s7, s7, 24
	s_mul_hi_u32 s10, s6, 24
	s_mul_i32 s6, s6, 24
	s_add_i32 s10, s10, s7
	v_add_co_u32 v6, vcc_lo, v0, s6
	v_add_co_ci_u32_e32 v7, vcc_lo, s10, v1, vcc_lo
	s_mov_b32 s6, exec_lo
	global_store_b64 v[6:7], v[16:17], off
	s_waitcnt_vscnt null, 0x0
	global_atomic_cmpswap_b64 v[2:3], v8, v[14:17], s[2:3] offset:32 glc
	s_waitcnt vmcnt(0)
	v_cmpx_ne_u64_e64 v[2:3], v[16:17]
	s_cbranch_execz .LBB1_127
; %bb.125:
	s_mov_b32 s7, 0
.LBB1_126:                              ; =>This Inner Loop Header: Depth=1
	v_dual_mov_b32 v0, s4 :: v_dual_mov_b32 v1, s5
	s_sleep 1
	global_store_b64 v[6:7], v[2:3], off
	s_waitcnt_vscnt null, 0x0
	global_atomic_cmpswap_b64 v[0:1], v8, v[0:3], s[2:3] offset:32 glc
	s_waitcnt vmcnt(0)
	v_cmp_eq_u64_e32 vcc_lo, v[0:1], v[2:3]
	v_dual_mov_b32 v3, v1 :: v_dual_mov_b32 v2, v0
	s_or_b32 s7, vcc_lo, s7
	s_delay_alu instid0(SALU_CYCLE_1)
	s_and_not1_b32 exec_lo, exec_lo, s7
	s_cbranch_execnz .LBB1_126
.LBB1_127:
	s_or_b32 exec_lo, exec_lo, s6
	v_mov_b32_e32 v3, 0
	s_mov_b32 s7, exec_lo
	s_mov_b32 s6, exec_lo
	v_mbcnt_lo_u32_b32 v2, s7, 0
	global_load_b64 v[0:1], v3, s[2:3] offset:16
	v_cmpx_eq_u32_e32 0, v2
	s_cbranch_execz .LBB1_129
; %bb.128:
	s_bcnt1_i32_b32 s7, s7
	s_delay_alu instid0(SALU_CYCLE_1)
	v_mov_b32_e32 v2, s7
	s_waitcnt vmcnt(0)
	global_atomic_add_u64 v[0:1], v[2:3], off offset:8
.LBB1_129:
	s_or_b32 exec_lo, exec_lo, s6
	s_waitcnt vmcnt(0)
	global_load_b64 v[2:3], v[0:1], off offset:16
	s_waitcnt vmcnt(0)
	v_cmp_eq_u64_e32 vcc_lo, 0, v[2:3]
	s_cbranch_vccnz .LBB1_131
; %bb.130:
	global_load_b32 v0, v[0:1], off offset:24
	s_waitcnt vmcnt(0)
	v_dual_mov_b32 v1, 0 :: v_dual_and_b32 v6, 0xffffff, v0
	s_waitcnt_vscnt null, 0x0
	global_store_b64 v[2:3], v[0:1], off
	v_readfirstlane_b32 m0, v6
	s_sendmsg sendmsg(MSG_INTERRUPT)
.LBB1_131:
	s_or_b32 exec_lo, exec_lo, s1
	s_branch .LBB1_135
	.p2align	6
.LBB1_132:                              ;   in Loop: Header=BB1_135 Depth=1
	s_or_b32 exec_lo, exec_lo, s1
	s_delay_alu instid0(VALU_DEP_1) | instskip(NEXT) | instid1(VALU_DEP_1)
	v_readfirstlane_b32 s1, v0
	s_cmp_eq_u32 s1, 0
	s_cbranch_scc1 .LBB1_134
; %bb.133:                              ;   in Loop: Header=BB1_135 Depth=1
	s_sleep 1
	s_cbranch_execnz .LBB1_135
	s_branch .LBB1_137
	.p2align	6
.LBB1_134:
	s_branch .LBB1_137
.LBB1_135:                              ; =>This Inner Loop Header: Depth=1
	v_mov_b32_e32 v0, 1
	s_and_saveexec_b32 s1, s0
	s_cbranch_execz .LBB1_132
; %bb.136:                              ;   in Loop: Header=BB1_135 Depth=1
	global_load_b32 v0, v[10:11], off offset:20 glc
	s_waitcnt vmcnt(0)
	buffer_gl1_inv
	buffer_gl0_inv
	v_and_b32_e32 v0, 1, v0
	s_branch .LBB1_132
.LBB1_137:
	global_load_b64 v[0:1], v[12:13], off
	s_and_saveexec_b32 s1, s0
	s_cbranch_execz .LBB1_141
; %bb.138:
	v_mov_b32_e32 v10, 0
	s_clause 0x2
	global_load_b64 v[2:3], v10, s[2:3] offset:40
	global_load_b64 v[11:12], v10, s[2:3] offset:24 glc
	global_load_b64 v[8:9], v10, s[2:3]
	s_waitcnt vmcnt(2)
	v_add_co_u32 v13, vcc_lo, v2, 1
	v_add_co_ci_u32_e32 v14, vcc_lo, 0, v3, vcc_lo
	s_delay_alu instid0(VALU_DEP_2) | instskip(NEXT) | instid1(VALU_DEP_2)
	v_add_co_u32 v6, vcc_lo, v13, s4
	v_add_co_ci_u32_e32 v7, vcc_lo, s5, v14, vcc_lo
	s_delay_alu instid0(VALU_DEP_1) | instskip(SKIP_1) | instid1(VALU_DEP_1)
	v_cmp_eq_u64_e32 vcc_lo, 0, v[6:7]
	v_dual_cndmask_b32 v7, v7, v14 :: v_dual_cndmask_b32 v6, v6, v13
	v_and_b32_e32 v3, v7, v3
	s_delay_alu instid0(VALU_DEP_2) | instskip(NEXT) | instid1(VALU_DEP_2)
	v_and_b32_e32 v2, v6, v2
	v_mul_lo_u32 v3, v3, 24
	s_delay_alu instid0(VALU_DEP_2) | instskip(SKIP_1) | instid1(VALU_DEP_2)
	v_mul_hi_u32 v13, v2, 24
	v_mul_lo_u32 v2, v2, 24
	v_add_nc_u32_e32 v3, v13, v3
	s_waitcnt vmcnt(0)
	s_delay_alu instid0(VALU_DEP_2) | instskip(SKIP_1) | instid1(VALU_DEP_3)
	v_add_co_u32 v2, vcc_lo, v8, v2
	v_mov_b32_e32 v8, v11
	v_add_co_ci_u32_e32 v3, vcc_lo, v9, v3, vcc_lo
	v_mov_b32_e32 v9, v12
	global_store_b64 v[2:3], v[11:12], off
	s_waitcnt_vscnt null, 0x0
	global_atomic_cmpswap_b64 v[8:9], v10, v[6:9], s[2:3] offset:24 glc
	s_waitcnt vmcnt(0)
	v_cmp_ne_u64_e32 vcc_lo, v[8:9], v[11:12]
	s_and_b32 exec_lo, exec_lo, vcc_lo
	s_cbranch_execz .LBB1_141
; %bb.139:
	s_mov_b32 s0, 0
.LBB1_140:                              ; =>This Inner Loop Header: Depth=1
	s_sleep 1
	global_store_b64 v[2:3], v[8:9], off
	s_waitcnt_vscnt null, 0x0
	global_atomic_cmpswap_b64 v[11:12], v10, v[6:9], s[2:3] offset:24 glc
	s_waitcnt vmcnt(0)
	v_cmp_eq_u64_e32 vcc_lo, v[11:12], v[8:9]
	v_dual_mov_b32 v8, v11 :: v_dual_mov_b32 v9, v12
	s_or_b32 s0, vcc_lo, s0
	s_delay_alu instid0(SALU_CYCLE_1)
	s_and_not1_b32 exec_lo, exec_lo, s0
	s_cbranch_execnz .LBB1_140
.LBB1_141:
	s_or_b32 exec_lo, exec_lo, s1
.LBB1_142:
	s_getpc_b64 s[4:5]
	s_add_u32 s4, s4, .str.2@rel32@lo+4
	s_addc_u32 s5, s5, .str.2@rel32@hi+12
	s_delay_alu instid0(SALU_CYCLE_1)
	s_cmp_lg_u64 s[4:5], 0
	s_cbranch_scc0 .LBB1_220
; %bb.143:
	s_getpc_b64 s[0:1]
	s_add_u32 s0, s0, .str.2@rel32@lo+80
	s_addc_u32 s1, s1, .str.2@rel32@hi+88
	s_waitcnt vmcnt(0)
	v_dual_mov_b32 v10, 0 :: v_dual_and_b32 v33, 2, v0
	v_dual_mov_b32 v7, v1 :: v_dual_and_b32 v6, -3, v0
	v_dual_mov_b32 v11, 2 :: v_dual_mov_b32 v12, 1
	s_sub_i32 s6, s0, s4
	s_delay_alu instid0(SALU_CYCLE_1)
	s_ashr_i32 s7, s6, 31
	s_branch .LBB1_145
.LBB1_144:                              ;   in Loop: Header=BB1_145 Depth=1
	s_or_b32 exec_lo, exec_lo, s1
	s_sub_u32 s6, s6, s10
	s_subb_u32 s7, s7, s11
	s_add_u32 s4, s4, s10
	s_addc_u32 s5, s5, s11
	s_cmp_lg_u64 s[6:7], 0
	s_cbranch_scc0 .LBB1_221
.LBB1_145:                              ; =>This Loop Header: Depth=1
                                        ;     Child Loop BB1_154 Depth 2
                                        ;     Child Loop BB1_150 Depth 2
                                        ;     Child Loop BB1_162 Depth 2
                                        ;     Child Loop BB1_169 Depth 2
                                        ;     Child Loop BB1_176 Depth 2
                                        ;     Child Loop BB1_183 Depth 2
                                        ;     Child Loop BB1_190 Depth 2
                                        ;     Child Loop BB1_197 Depth 2
                                        ;     Child Loop BB1_205 Depth 2
                                        ;     Child Loop BB1_214 Depth 2
                                        ;     Child Loop BB1_219 Depth 2
	v_cmp_lt_u64_e64 s0, s[6:7], 56
	v_cmp_gt_u64_e64 s1, s[6:7], 7
                                        ; implicit-def: $vgpr15_vgpr16
                                        ; implicit-def: $sgpr16
	s_delay_alu instid0(VALU_DEP_2) | instskip(SKIP_2) | instid1(VALU_DEP_1)
	s_and_b32 s0, s0, exec_lo
	s_cselect_b32 s11, s7, 0
	s_cselect_b32 s10, s6, 56
	s_and_b32 vcc_lo, exec_lo, s1
	s_mov_b32 s0, -1
	s_cbranch_vccz .LBB1_152
; %bb.146:                              ;   in Loop: Header=BB1_145 Depth=1
	s_and_not1_b32 vcc_lo, exec_lo, s0
	s_mov_b64 s[0:1], s[4:5]
	s_cbranch_vccz .LBB1_156
.LBB1_147:                              ;   in Loop: Header=BB1_145 Depth=1
	s_cmp_gt_u32 s16, 7
	s_cbranch_scc1 .LBB1_157
.LBB1_148:                              ;   in Loop: Header=BB1_145 Depth=1
	v_mov_b32_e32 v17, 0
	v_mov_b32_e32 v18, 0
	s_cmp_eq_u32 s16, 0
	s_cbranch_scc1 .LBB1_151
; %bb.149:                              ;   in Loop: Header=BB1_145 Depth=1
	s_mov_b64 s[12:13], 0
	s_mov_b64 s[14:15], 0
.LBB1_150:                              ;   Parent Loop BB1_145 Depth=1
                                        ; =>  This Inner Loop Header: Depth=2
	s_delay_alu instid0(SALU_CYCLE_1)
	s_add_u32 s18, s0, s14
	s_addc_u32 s19, s1, s15
	s_add_u32 s14, s14, 1
	global_load_u8 v2, v10, s[18:19]
	s_addc_u32 s15, s15, 0
	s_waitcnt vmcnt(0)
	v_and_b32_e32 v9, 0xffff, v2
	s_delay_alu instid0(VALU_DEP_1) | instskip(SKIP_3) | instid1(VALU_DEP_1)
	v_lshlrev_b64 v[2:3], s12, v[9:10]
	s_add_u32 s12, s12, 8
	s_addc_u32 s13, s13, 0
	s_cmp_lg_u32 s16, s14
	v_or_b32_e32 v17, v2, v17
	s_delay_alu instid0(VALU_DEP_2)
	v_or_b32_e32 v18, v3, v18
	s_cbranch_scc1 .LBB1_150
.LBB1_151:                              ;   in Loop: Header=BB1_145 Depth=1
	s_mov_b32 s17, 0
	s_cbranch_execz .LBB1_158
	s_branch .LBB1_159
.LBB1_152:                              ;   in Loop: Header=BB1_145 Depth=1
	v_mov_b32_e32 v15, 0
	v_mov_b32_e32 v16, 0
	s_cmp_eq_u64 s[6:7], 0
	s_mov_b64 s[0:1], 0
	s_cbranch_scc1 .LBB1_155
; %bb.153:                              ;   in Loop: Header=BB1_145 Depth=1
	v_mov_b32_e32 v15, 0
	v_mov_b32_e32 v16, 0
	s_lshl_b64 s[12:13], s[10:11], 3
	s_mov_b64 s[14:15], s[4:5]
.LBB1_154:                              ;   Parent Loop BB1_145 Depth=1
                                        ; =>  This Inner Loop Header: Depth=2
	global_load_u8 v2, v10, s[14:15]
	s_waitcnt vmcnt(0)
	v_and_b32_e32 v9, 0xffff, v2
	s_delay_alu instid0(VALU_DEP_1)
	v_lshlrev_b64 v[2:3], s0, v[9:10]
	s_add_u32 s0, s0, 8
	s_addc_u32 s1, s1, 0
	s_add_u32 s14, s14, 1
	s_addc_u32 s15, s15, 0
	s_cmp_lg_u32 s12, s0
	v_or_b32_e32 v15, v2, v15
	v_or_b32_e32 v16, v3, v16
	s_cbranch_scc1 .LBB1_154
.LBB1_155:                              ;   in Loop: Header=BB1_145 Depth=1
	s_mov_b32 s16, 0
	s_mov_b64 s[0:1], s[4:5]
	s_cbranch_execnz .LBB1_147
.LBB1_156:                              ;   in Loop: Header=BB1_145 Depth=1
	global_load_b64 v[15:16], v10, s[4:5]
	s_add_i32 s16, s10, -8
	s_add_u32 s0, s4, 8
	s_addc_u32 s1, s5, 0
	s_cmp_gt_u32 s16, 7
	s_cbranch_scc0 .LBB1_148
.LBB1_157:                              ;   in Loop: Header=BB1_145 Depth=1
                                        ; implicit-def: $vgpr17_vgpr18
                                        ; implicit-def: $sgpr17
.LBB1_158:                              ;   in Loop: Header=BB1_145 Depth=1
	global_load_b64 v[17:18], v10, s[0:1]
	s_add_i32 s17, s16, -8
	s_add_u32 s0, s0, 8
	s_addc_u32 s1, s1, 0
.LBB1_159:                              ;   in Loop: Header=BB1_145 Depth=1
	s_cmp_gt_u32 s17, 7
	s_cbranch_scc1 .LBB1_164
; %bb.160:                              ;   in Loop: Header=BB1_145 Depth=1
	v_mov_b32_e32 v19, 0
	v_mov_b32_e32 v20, 0
	s_cmp_eq_u32 s17, 0
	s_cbranch_scc1 .LBB1_163
; %bb.161:                              ;   in Loop: Header=BB1_145 Depth=1
	s_mov_b64 s[12:13], 0
	s_mov_b64 s[14:15], 0
.LBB1_162:                              ;   Parent Loop BB1_145 Depth=1
                                        ; =>  This Inner Loop Header: Depth=2
	s_delay_alu instid0(SALU_CYCLE_1)
	s_add_u32 s18, s0, s14
	s_addc_u32 s19, s1, s15
	s_add_u32 s14, s14, 1
	global_load_u8 v2, v10, s[18:19]
	s_addc_u32 s15, s15, 0
	s_waitcnt vmcnt(0)
	v_and_b32_e32 v9, 0xffff, v2
	s_delay_alu instid0(VALU_DEP_1) | instskip(SKIP_3) | instid1(VALU_DEP_1)
	v_lshlrev_b64 v[2:3], s12, v[9:10]
	s_add_u32 s12, s12, 8
	s_addc_u32 s13, s13, 0
	s_cmp_lg_u32 s17, s14
	v_or_b32_e32 v19, v2, v19
	s_delay_alu instid0(VALU_DEP_2)
	v_or_b32_e32 v20, v3, v20
	s_cbranch_scc1 .LBB1_162
.LBB1_163:                              ;   in Loop: Header=BB1_145 Depth=1
	s_mov_b32 s16, 0
	s_cbranch_execz .LBB1_165
	s_branch .LBB1_166
.LBB1_164:                              ;   in Loop: Header=BB1_145 Depth=1
                                        ; implicit-def: $sgpr16
.LBB1_165:                              ;   in Loop: Header=BB1_145 Depth=1
	global_load_b64 v[19:20], v10, s[0:1]
	s_add_i32 s16, s17, -8
	s_add_u32 s0, s0, 8
	s_addc_u32 s1, s1, 0
.LBB1_166:                              ;   in Loop: Header=BB1_145 Depth=1
	s_cmp_gt_u32 s16, 7
	s_cbranch_scc1 .LBB1_171
; %bb.167:                              ;   in Loop: Header=BB1_145 Depth=1
	v_mov_b32_e32 v21, 0
	v_mov_b32_e32 v22, 0
	s_cmp_eq_u32 s16, 0
	s_cbranch_scc1 .LBB1_170
; %bb.168:                              ;   in Loop: Header=BB1_145 Depth=1
	s_mov_b64 s[12:13], 0
	s_mov_b64 s[14:15], 0
.LBB1_169:                              ;   Parent Loop BB1_145 Depth=1
                                        ; =>  This Inner Loop Header: Depth=2
	s_delay_alu instid0(SALU_CYCLE_1)
	s_add_u32 s18, s0, s14
	s_addc_u32 s19, s1, s15
	s_add_u32 s14, s14, 1
	global_load_u8 v2, v10, s[18:19]
	s_addc_u32 s15, s15, 0
	s_waitcnt vmcnt(0)
	v_and_b32_e32 v9, 0xffff, v2
	s_delay_alu instid0(VALU_DEP_1) | instskip(SKIP_3) | instid1(VALU_DEP_1)
	v_lshlrev_b64 v[2:3], s12, v[9:10]
	s_add_u32 s12, s12, 8
	s_addc_u32 s13, s13, 0
	s_cmp_lg_u32 s16, s14
	v_or_b32_e32 v21, v2, v21
	s_delay_alu instid0(VALU_DEP_2)
	v_or_b32_e32 v22, v3, v22
	s_cbranch_scc1 .LBB1_169
.LBB1_170:                              ;   in Loop: Header=BB1_145 Depth=1
	s_mov_b32 s17, 0
	s_cbranch_execz .LBB1_172
	s_branch .LBB1_173
.LBB1_171:                              ;   in Loop: Header=BB1_145 Depth=1
                                        ; implicit-def: $vgpr21_vgpr22
                                        ; implicit-def: $sgpr17
.LBB1_172:                              ;   in Loop: Header=BB1_145 Depth=1
	global_load_b64 v[21:22], v10, s[0:1]
	s_add_i32 s17, s16, -8
	s_add_u32 s0, s0, 8
	s_addc_u32 s1, s1, 0
.LBB1_173:                              ;   in Loop: Header=BB1_145 Depth=1
	s_cmp_gt_u32 s17, 7
	s_cbranch_scc1 .LBB1_178
; %bb.174:                              ;   in Loop: Header=BB1_145 Depth=1
	v_mov_b32_e32 v23, 0
	v_mov_b32_e32 v24, 0
	s_cmp_eq_u32 s17, 0
	s_cbranch_scc1 .LBB1_177
; %bb.175:                              ;   in Loop: Header=BB1_145 Depth=1
	s_mov_b64 s[12:13], 0
	s_mov_b64 s[14:15], 0
.LBB1_176:                              ;   Parent Loop BB1_145 Depth=1
                                        ; =>  This Inner Loop Header: Depth=2
	s_delay_alu instid0(SALU_CYCLE_1)
	s_add_u32 s18, s0, s14
	s_addc_u32 s19, s1, s15
	s_add_u32 s14, s14, 1
	global_load_u8 v2, v10, s[18:19]
	s_addc_u32 s15, s15, 0
	s_waitcnt vmcnt(0)
	v_and_b32_e32 v9, 0xffff, v2
	s_delay_alu instid0(VALU_DEP_1) | instskip(SKIP_3) | instid1(VALU_DEP_1)
	v_lshlrev_b64 v[2:3], s12, v[9:10]
	s_add_u32 s12, s12, 8
	s_addc_u32 s13, s13, 0
	s_cmp_lg_u32 s17, s14
	v_or_b32_e32 v23, v2, v23
	s_delay_alu instid0(VALU_DEP_2)
	v_or_b32_e32 v24, v3, v24
	s_cbranch_scc1 .LBB1_176
.LBB1_177:                              ;   in Loop: Header=BB1_145 Depth=1
	s_mov_b32 s16, 0
	s_cbranch_execz .LBB1_179
	s_branch .LBB1_180
.LBB1_178:                              ;   in Loop: Header=BB1_145 Depth=1
                                        ; implicit-def: $sgpr16
.LBB1_179:                              ;   in Loop: Header=BB1_145 Depth=1
	global_load_b64 v[23:24], v10, s[0:1]
	s_add_i32 s16, s17, -8
	s_add_u32 s0, s0, 8
	s_addc_u32 s1, s1, 0
.LBB1_180:                              ;   in Loop: Header=BB1_145 Depth=1
	s_cmp_gt_u32 s16, 7
	s_cbranch_scc1 .LBB1_185
; %bb.181:                              ;   in Loop: Header=BB1_145 Depth=1
	v_mov_b32_e32 v25, 0
	v_mov_b32_e32 v26, 0
	s_cmp_eq_u32 s16, 0
	s_cbranch_scc1 .LBB1_184
; %bb.182:                              ;   in Loop: Header=BB1_145 Depth=1
	s_mov_b64 s[12:13], 0
	s_mov_b64 s[14:15], 0
.LBB1_183:                              ;   Parent Loop BB1_145 Depth=1
                                        ; =>  This Inner Loop Header: Depth=2
	s_delay_alu instid0(SALU_CYCLE_1)
	s_add_u32 s18, s0, s14
	s_addc_u32 s19, s1, s15
	s_add_u32 s14, s14, 1
	global_load_u8 v2, v10, s[18:19]
	s_addc_u32 s15, s15, 0
	s_waitcnt vmcnt(0)
	v_and_b32_e32 v9, 0xffff, v2
	s_delay_alu instid0(VALU_DEP_1) | instskip(SKIP_3) | instid1(VALU_DEP_1)
	v_lshlrev_b64 v[2:3], s12, v[9:10]
	s_add_u32 s12, s12, 8
	s_addc_u32 s13, s13, 0
	s_cmp_lg_u32 s16, s14
	v_or_b32_e32 v25, v2, v25
	s_delay_alu instid0(VALU_DEP_2)
	v_or_b32_e32 v26, v3, v26
	s_cbranch_scc1 .LBB1_183
.LBB1_184:                              ;   in Loop: Header=BB1_145 Depth=1
	s_mov_b32 s17, 0
	s_cbranch_execz .LBB1_186
	s_branch .LBB1_187
.LBB1_185:                              ;   in Loop: Header=BB1_145 Depth=1
                                        ; implicit-def: $vgpr25_vgpr26
                                        ; implicit-def: $sgpr17
.LBB1_186:                              ;   in Loop: Header=BB1_145 Depth=1
	global_load_b64 v[25:26], v10, s[0:1]
	s_add_i32 s17, s16, -8
	s_add_u32 s0, s0, 8
	s_addc_u32 s1, s1, 0
.LBB1_187:                              ;   in Loop: Header=BB1_145 Depth=1
	s_cmp_gt_u32 s17, 7
	s_cbranch_scc1 .LBB1_192
; %bb.188:                              ;   in Loop: Header=BB1_145 Depth=1
	v_mov_b32_e32 v27, 0
	v_mov_b32_e32 v28, 0
	s_cmp_eq_u32 s17, 0
	s_cbranch_scc1 .LBB1_191
; %bb.189:                              ;   in Loop: Header=BB1_145 Depth=1
	s_mov_b64 s[12:13], 0
	s_mov_b64 s[14:15], s[0:1]
.LBB1_190:                              ;   Parent Loop BB1_145 Depth=1
                                        ; =>  This Inner Loop Header: Depth=2
	global_load_u8 v2, v10, s[14:15]
	s_add_i32 s17, s17, -1
	s_waitcnt vmcnt(0)
	v_and_b32_e32 v9, 0xffff, v2
	s_delay_alu instid0(VALU_DEP_1)
	v_lshlrev_b64 v[2:3], s12, v[9:10]
	s_add_u32 s12, s12, 8
	s_addc_u32 s13, s13, 0
	s_add_u32 s14, s14, 1
	s_addc_u32 s15, s15, 0
	s_cmp_lg_u32 s17, 0
	v_or_b32_e32 v27, v2, v27
	v_or_b32_e32 v28, v3, v28
	s_cbranch_scc1 .LBB1_190
.LBB1_191:                              ;   in Loop: Header=BB1_145 Depth=1
	s_cbranch_execz .LBB1_193
	s_branch .LBB1_194
.LBB1_192:                              ;   in Loop: Header=BB1_145 Depth=1
.LBB1_193:                              ;   in Loop: Header=BB1_145 Depth=1
	global_load_b64 v[27:28], v10, s[0:1]
.LBB1_194:                              ;   in Loop: Header=BB1_145 Depth=1
	v_readfirstlane_b32 s0, v35
	v_mov_b32_e32 v2, 0
	v_mov_b32_e32 v3, 0
	s_delay_alu instid0(VALU_DEP_3) | instskip(NEXT) | instid1(VALU_DEP_1)
	v_cmp_eq_u32_e64 s0, s0, v35
	s_and_saveexec_b32 s1, s0
	s_cbranch_execz .LBB1_200
; %bb.195:                              ;   in Loop: Header=BB1_145 Depth=1
	global_load_b64 v[31:32], v10, s[2:3] offset:24 glc
	s_waitcnt vmcnt(0)
	buffer_gl1_inv
	buffer_gl0_inv
	s_clause 0x1
	global_load_b64 v[2:3], v10, s[2:3] offset:40
	global_load_b64 v[8:9], v10, s[2:3]
	s_mov_b32 s12, exec_lo
	s_waitcnt vmcnt(1)
	v_and_b32_e32 v3, v3, v32
	v_and_b32_e32 v2, v2, v31
	s_delay_alu instid0(VALU_DEP_2) | instskip(NEXT) | instid1(VALU_DEP_2)
	v_mul_lo_u32 v3, v3, 24
	v_mul_hi_u32 v13, v2, 24
	v_mul_lo_u32 v2, v2, 24
	s_delay_alu instid0(VALU_DEP_2) | instskip(SKIP_1) | instid1(VALU_DEP_2)
	v_add_nc_u32_e32 v3, v13, v3
	s_waitcnt vmcnt(0)
	v_add_co_u32 v2, vcc_lo, v8, v2
	s_delay_alu instid0(VALU_DEP_2)
	v_add_co_ci_u32_e32 v3, vcc_lo, v9, v3, vcc_lo
	global_load_b64 v[29:30], v[2:3], off glc
	s_waitcnt vmcnt(0)
	global_atomic_cmpswap_b64 v[2:3], v10, v[29:32], s[2:3] offset:24 glc
	s_waitcnt vmcnt(0)
	buffer_gl1_inv
	buffer_gl0_inv
	v_cmpx_ne_u64_e64 v[2:3], v[31:32]
	s_cbranch_execz .LBB1_199
; %bb.196:                              ;   in Loop: Header=BB1_145 Depth=1
	s_mov_b32 s13, 0
	.p2align	6
.LBB1_197:                              ;   Parent Loop BB1_145 Depth=1
                                        ; =>  This Inner Loop Header: Depth=2
	s_sleep 1
	s_clause 0x1
	global_load_b64 v[8:9], v10, s[2:3] offset:40
	global_load_b64 v[13:14], v10, s[2:3]
	v_dual_mov_b32 v32, v3 :: v_dual_mov_b32 v31, v2
	s_waitcnt vmcnt(1)
	s_delay_alu instid0(VALU_DEP_1) | instskip(SKIP_1) | instid1(VALU_DEP_1)
	v_and_b32_e32 v8, v8, v31
	s_waitcnt vmcnt(0)
	v_mad_u64_u32 v[2:3], null, v8, 24, v[13:14]
	v_and_b32_e32 v13, v9, v32
	s_delay_alu instid0(VALU_DEP_1) | instskip(NEXT) | instid1(VALU_DEP_1)
	v_mad_u64_u32 v[8:9], null, v13, 24, v[3:4]
	v_mov_b32_e32 v3, v8
	global_load_b64 v[29:30], v[2:3], off glc
	s_waitcnt vmcnt(0)
	global_atomic_cmpswap_b64 v[2:3], v10, v[29:32], s[2:3] offset:24 glc
	s_waitcnt vmcnt(0)
	buffer_gl1_inv
	buffer_gl0_inv
	v_cmp_eq_u64_e32 vcc_lo, v[2:3], v[31:32]
	s_or_b32 s13, vcc_lo, s13
	s_delay_alu instid0(SALU_CYCLE_1)
	s_and_not1_b32 exec_lo, exec_lo, s13
	s_cbranch_execnz .LBB1_197
; %bb.198:                              ;   in Loop: Header=BB1_145 Depth=1
	s_or_b32 exec_lo, exec_lo, s13
.LBB1_199:                              ;   in Loop: Header=BB1_145 Depth=1
	s_delay_alu instid0(SALU_CYCLE_1)
	s_or_b32 exec_lo, exec_lo, s12
.LBB1_200:                              ;   in Loop: Header=BB1_145 Depth=1
	s_delay_alu instid0(SALU_CYCLE_1)
	s_or_b32 exec_lo, exec_lo, s1
	s_clause 0x1
	global_load_b64 v[8:9], v10, s[2:3] offset:40
	global_load_b128 v[29:32], v10, s[2:3]
	v_readfirstlane_b32 s12, v2
	v_readfirstlane_b32 s13, v3
	s_mov_b32 s1, exec_lo
	s_waitcnt vmcnt(1)
	v_readfirstlane_b32 s14, v8
	v_readfirstlane_b32 s15, v9
	s_delay_alu instid0(VALU_DEP_1) | instskip(NEXT) | instid1(SALU_CYCLE_1)
	s_and_b64 s[14:15], s[12:13], s[14:15]
	s_mul_i32 s16, s15, 24
	s_mul_hi_u32 s17, s14, 24
	s_mul_i32 s18, s14, 24
	s_add_i32 s17, s17, s16
	s_waitcnt vmcnt(0)
	v_add_co_u32 v2, vcc_lo, v29, s18
	v_add_co_ci_u32_e32 v3, vcc_lo, s17, v30, vcc_lo
	s_and_saveexec_b32 s16, s0
	s_cbranch_execz .LBB1_202
; %bb.201:                              ;   in Loop: Header=BB1_145 Depth=1
	v_mov_b32_e32 v9, s1
	global_store_b128 v[2:3], v[9:12], off offset:8
.LBB1_202:                              ;   in Loop: Header=BB1_145 Depth=1
	s_or_b32 exec_lo, exec_lo, s16
	s_lshl_b64 s[14:15], s[14:15], 12
	v_cmp_gt_u64_e64 vcc_lo, s[6:7], 56
	v_or_b32_e32 v9, v6, v33
	v_add_co_u32 v31, s1, v31, s14
	s_delay_alu instid0(VALU_DEP_1)
	v_add_co_ci_u32_e64 v32, s1, s15, v32, s1
	s_lshl_b32 s1, s10, 2
	v_or_b32_e32 v8, 0, v7
	v_cndmask_b32_e32 v6, v9, v6, vcc_lo
	s_add_i32 s1, s1, 28
	v_readfirstlane_b32 s14, v31
	s_and_b32 s1, s1, 0x1e0
	v_cndmask_b32_e32 v14, v8, v7, vcc_lo
	v_readfirstlane_b32 s15, v32
	v_and_or_b32 v13, 0xffffff1f, v6, s1
	s_clause 0x3
	global_store_b128 v34, v[13:16], s[14:15]
	global_store_b128 v34, v[17:20], s[14:15] offset:16
	global_store_b128 v34, v[21:24], s[14:15] offset:32
	;; [unrolled: 1-line block ×3, first 2 shown]
	s_and_saveexec_b32 s1, s0
	s_cbranch_execz .LBB1_210
; %bb.203:                              ;   in Loop: Header=BB1_145 Depth=1
	s_clause 0x1
	global_load_b64 v[17:18], v10, s[2:3] offset:32 glc
	global_load_b64 v[6:7], v10, s[2:3] offset:40
	v_dual_mov_b32 v15, s12 :: v_dual_mov_b32 v16, s13
	s_waitcnt vmcnt(0)
	v_readfirstlane_b32 s14, v6
	v_readfirstlane_b32 s15, v7
	s_delay_alu instid0(VALU_DEP_1) | instskip(NEXT) | instid1(SALU_CYCLE_1)
	s_and_b64 s[14:15], s[14:15], s[12:13]
	s_mul_i32 s15, s15, 24
	s_mul_hi_u32 s16, s14, 24
	s_mul_i32 s14, s14, 24
	s_add_i32 s16, s16, s15
	v_add_co_u32 v13, vcc_lo, v29, s14
	v_add_co_ci_u32_e32 v14, vcc_lo, s16, v30, vcc_lo
	s_mov_b32 s14, exec_lo
	global_store_b64 v[13:14], v[17:18], off
	s_waitcnt_vscnt null, 0x0
	global_atomic_cmpswap_b64 v[8:9], v10, v[15:18], s[2:3] offset:32 glc
	s_waitcnt vmcnt(0)
	v_cmpx_ne_u64_e64 v[8:9], v[17:18]
	s_cbranch_execz .LBB1_206
; %bb.204:                              ;   in Loop: Header=BB1_145 Depth=1
	s_mov_b32 s15, 0
.LBB1_205:                              ;   Parent Loop BB1_145 Depth=1
                                        ; =>  This Inner Loop Header: Depth=2
	v_dual_mov_b32 v6, s12 :: v_dual_mov_b32 v7, s13
	s_sleep 1
	global_store_b64 v[13:14], v[8:9], off
	s_waitcnt_vscnt null, 0x0
	global_atomic_cmpswap_b64 v[6:7], v10, v[6:9], s[2:3] offset:32 glc
	s_waitcnt vmcnt(0)
	v_cmp_eq_u64_e32 vcc_lo, v[6:7], v[8:9]
	v_dual_mov_b32 v9, v7 :: v_dual_mov_b32 v8, v6
	s_or_b32 s15, vcc_lo, s15
	s_delay_alu instid0(SALU_CYCLE_1)
	s_and_not1_b32 exec_lo, exec_lo, s15
	s_cbranch_execnz .LBB1_205
.LBB1_206:                              ;   in Loop: Header=BB1_145 Depth=1
	s_or_b32 exec_lo, exec_lo, s14
	global_load_b64 v[6:7], v10, s[2:3] offset:16
	s_mov_b32 s15, exec_lo
	s_mov_b32 s14, exec_lo
	v_mbcnt_lo_u32_b32 v8, s15, 0
	s_delay_alu instid0(VALU_DEP_1)
	v_cmpx_eq_u32_e32 0, v8
	s_cbranch_execz .LBB1_208
; %bb.207:                              ;   in Loop: Header=BB1_145 Depth=1
	s_bcnt1_i32_b32 s15, s15
	s_delay_alu instid0(SALU_CYCLE_1)
	v_mov_b32_e32 v9, s15
	s_waitcnt vmcnt(0)
	global_atomic_add_u64 v[6:7], v[9:10], off offset:8
.LBB1_208:                              ;   in Loop: Header=BB1_145 Depth=1
	s_or_b32 exec_lo, exec_lo, s14
	s_waitcnt vmcnt(0)
	global_load_b64 v[13:14], v[6:7], off offset:16
	s_waitcnt vmcnt(0)
	v_cmp_eq_u64_e32 vcc_lo, 0, v[13:14]
	s_cbranch_vccnz .LBB1_210
; %bb.209:                              ;   in Loop: Header=BB1_145 Depth=1
	global_load_b32 v9, v[6:7], off offset:24
	s_waitcnt vmcnt(0)
	v_and_b32_e32 v6, 0xffffff, v9
	s_waitcnt_vscnt null, 0x0
	global_store_b64 v[13:14], v[9:10], off
	v_readfirstlane_b32 m0, v6
	s_sendmsg sendmsg(MSG_INTERRUPT)
.LBB1_210:                              ;   in Loop: Header=BB1_145 Depth=1
	s_or_b32 exec_lo, exec_lo, s1
	v_add_co_u32 v6, vcc_lo, v31, v34
	v_add_co_ci_u32_e32 v7, vcc_lo, 0, v32, vcc_lo
	s_branch .LBB1_214
	.p2align	6
.LBB1_211:                              ;   in Loop: Header=BB1_214 Depth=2
	s_or_b32 exec_lo, exec_lo, s1
	s_delay_alu instid0(VALU_DEP_1) | instskip(NEXT) | instid1(VALU_DEP_1)
	v_readfirstlane_b32 s1, v8
	s_cmp_eq_u32 s1, 0
	s_cbranch_scc1 .LBB1_213
; %bb.212:                              ;   in Loop: Header=BB1_214 Depth=2
	s_sleep 1
	s_cbranch_execnz .LBB1_214
	s_branch .LBB1_216
	.p2align	6
.LBB1_213:                              ;   in Loop: Header=BB1_145 Depth=1
	s_branch .LBB1_216
.LBB1_214:                              ;   Parent Loop BB1_145 Depth=1
                                        ; =>  This Inner Loop Header: Depth=2
	v_mov_b32_e32 v8, 1
	s_and_saveexec_b32 s1, s0
	s_cbranch_execz .LBB1_211
; %bb.215:                              ;   in Loop: Header=BB1_214 Depth=2
	global_load_b32 v8, v[2:3], off offset:20 glc
	s_waitcnt vmcnt(0)
	buffer_gl1_inv
	buffer_gl0_inv
	v_and_b32_e32 v8, 1, v8
	s_branch .LBB1_211
.LBB1_216:                              ;   in Loop: Header=BB1_145 Depth=1
	global_load_b128 v[6:9], v[6:7], off
	s_and_saveexec_b32 s1, s0
	s_cbranch_execz .LBB1_144
; %bb.217:                              ;   in Loop: Header=BB1_145 Depth=1
	s_clause 0x2
	global_load_b64 v[2:3], v10, s[2:3] offset:40
	global_load_b64 v[8:9], v10, s[2:3] offset:24 glc
	global_load_b64 v[15:16], v10, s[2:3]
	s_waitcnt vmcnt(2)
	v_add_co_u32 v17, vcc_lo, v2, 1
	v_add_co_ci_u32_e32 v18, vcc_lo, 0, v3, vcc_lo
	s_delay_alu instid0(VALU_DEP_2) | instskip(NEXT) | instid1(VALU_DEP_2)
	v_add_co_u32 v13, vcc_lo, v17, s12
	v_add_co_ci_u32_e32 v14, vcc_lo, s13, v18, vcc_lo
	s_delay_alu instid0(VALU_DEP_1) | instskip(SKIP_1) | instid1(VALU_DEP_1)
	v_cmp_eq_u64_e32 vcc_lo, 0, v[13:14]
	v_dual_cndmask_b32 v14, v14, v18 :: v_dual_cndmask_b32 v13, v13, v17
	v_and_b32_e32 v3, v14, v3
	s_delay_alu instid0(VALU_DEP_2) | instskip(NEXT) | instid1(VALU_DEP_2)
	v_and_b32_e32 v2, v13, v2
	v_mul_lo_u32 v3, v3, 24
	s_delay_alu instid0(VALU_DEP_2) | instskip(SKIP_1) | instid1(VALU_DEP_2)
	v_mul_hi_u32 v17, v2, 24
	v_mul_lo_u32 v2, v2, 24
	v_add_nc_u32_e32 v3, v17, v3
	s_waitcnt vmcnt(0)
	s_delay_alu instid0(VALU_DEP_2) | instskip(SKIP_1) | instid1(VALU_DEP_3)
	v_add_co_u32 v2, vcc_lo, v15, v2
	v_mov_b32_e32 v15, v8
	v_add_co_ci_u32_e32 v3, vcc_lo, v16, v3, vcc_lo
	v_mov_b32_e32 v16, v9
	global_store_b64 v[2:3], v[8:9], off
	s_waitcnt_vscnt null, 0x0
	global_atomic_cmpswap_b64 v[15:16], v10, v[13:16], s[2:3] offset:24 glc
	s_waitcnt vmcnt(0)
	v_cmp_ne_u64_e32 vcc_lo, v[15:16], v[8:9]
	s_and_b32 exec_lo, exec_lo, vcc_lo
	s_cbranch_execz .LBB1_144
; %bb.218:                              ;   in Loop: Header=BB1_145 Depth=1
	s_mov_b32 s0, 0
.LBB1_219:                              ;   Parent Loop BB1_145 Depth=1
                                        ; =>  This Inner Loop Header: Depth=2
	s_sleep 1
	global_store_b64 v[2:3], v[15:16], off
	s_waitcnt_vscnt null, 0x0
	global_atomic_cmpswap_b64 v[8:9], v10, v[13:16], s[2:3] offset:24 glc
	s_waitcnt vmcnt(0)
	v_cmp_eq_u64_e32 vcc_lo, v[8:9], v[15:16]
	v_dual_mov_b32 v16, v9 :: v_dual_mov_b32 v15, v8
	s_or_b32 s0, vcc_lo, s0
	s_delay_alu instid0(SALU_CYCLE_1)
	s_and_not1_b32 exec_lo, exec_lo, s0
	s_cbranch_execnz .LBB1_219
	s_branch .LBB1_144
.LBB1_220:
                                        ; implicit-def: $vgpr6_vgpr7
	s_cbranch_execnz .LBB1_222
	s_branch .LBB1_249
.LBB1_221:
	s_branch .LBB1_249
.LBB1_222:
	v_readfirstlane_b32 s0, v35
	v_mov_b32_e32 v10, 0
	v_mov_b32_e32 v11, 0
	s_delay_alu instid0(VALU_DEP_3) | instskip(NEXT) | instid1(VALU_DEP_1)
	v_cmp_eq_u32_e64 s0, s0, v35
	s_and_saveexec_b32 s1, s0
	s_cbranch_execz .LBB1_228
; %bb.223:
	s_waitcnt vmcnt(0)
	v_mov_b32_e32 v2, 0
	s_mov_b32 s4, exec_lo
	global_load_b64 v[8:9], v2, s[2:3] offset:24 glc
	s_waitcnt vmcnt(0)
	buffer_gl1_inv
	buffer_gl0_inv
	s_clause 0x1
	global_load_b64 v[6:7], v2, s[2:3] offset:40
	global_load_b64 v[10:11], v2, s[2:3]
	s_waitcnt vmcnt(1)
	v_and_b32_e32 v3, v7, v9
	v_and_b32_e32 v6, v6, v8
	s_delay_alu instid0(VALU_DEP_2) | instskip(NEXT) | instid1(VALU_DEP_2)
	v_mul_lo_u32 v3, v3, 24
	v_mul_hi_u32 v7, v6, 24
	v_mul_lo_u32 v6, v6, 24
	s_delay_alu instid0(VALU_DEP_2) | instskip(SKIP_1) | instid1(VALU_DEP_2)
	v_add_nc_u32_e32 v3, v7, v3
	s_waitcnt vmcnt(0)
	v_add_co_u32 v6, vcc_lo, v10, v6
	s_delay_alu instid0(VALU_DEP_2)
	v_add_co_ci_u32_e32 v7, vcc_lo, v11, v3, vcc_lo
	global_load_b64 v[6:7], v[6:7], off glc
	s_waitcnt vmcnt(0)
	global_atomic_cmpswap_b64 v[10:11], v2, v[6:9], s[2:3] offset:24 glc
	s_waitcnt vmcnt(0)
	buffer_gl1_inv
	buffer_gl0_inv
	v_cmpx_ne_u64_e64 v[10:11], v[8:9]
	s_cbranch_execz .LBB1_227
; %bb.224:
	s_mov_b32 s5, 0
	.p2align	6
.LBB1_225:                              ; =>This Inner Loop Header: Depth=1
	s_sleep 1
	s_clause 0x1
	global_load_b64 v[6:7], v2, s[2:3] offset:40
	global_load_b64 v[12:13], v2, s[2:3]
	v_dual_mov_b32 v8, v10 :: v_dual_mov_b32 v9, v11
	s_waitcnt vmcnt(1)
	s_delay_alu instid0(VALU_DEP_1) | instskip(SKIP_1) | instid1(VALU_DEP_1)
	v_and_b32_e32 v3, v6, v8
	s_waitcnt vmcnt(0)
	v_mad_u64_u32 v[10:11], null, v3, 24, v[12:13]
	v_and_b32_e32 v12, v7, v9
	s_delay_alu instid0(VALU_DEP_2) | instskip(NEXT) | instid1(VALU_DEP_1)
	v_mov_b32_e32 v3, v11
	v_mad_u64_u32 v[6:7], null, v12, 24, v[3:4]
	s_delay_alu instid0(VALU_DEP_1)
	v_mov_b32_e32 v11, v6
	global_load_b64 v[6:7], v[10:11], off glc
	s_waitcnt vmcnt(0)
	global_atomic_cmpswap_b64 v[10:11], v2, v[6:9], s[2:3] offset:24 glc
	s_waitcnt vmcnt(0)
	buffer_gl1_inv
	buffer_gl0_inv
	v_cmp_eq_u64_e32 vcc_lo, v[10:11], v[8:9]
	s_or_b32 s5, vcc_lo, s5
	s_delay_alu instid0(SALU_CYCLE_1)
	s_and_not1_b32 exec_lo, exec_lo, s5
	s_cbranch_execnz .LBB1_225
; %bb.226:
	s_or_b32 exec_lo, exec_lo, s5
.LBB1_227:
	s_delay_alu instid0(SALU_CYCLE_1)
	s_or_b32 exec_lo, exec_lo, s4
.LBB1_228:
	s_delay_alu instid0(SALU_CYCLE_1)
	s_or_b32 exec_lo, exec_lo, s1
	s_waitcnt vmcnt(0)
	v_mov_b32_e32 v2, 0
	v_readfirstlane_b32 s4, v10
	v_readfirstlane_b32 s5, v11
	s_mov_b32 s1, exec_lo
	s_clause 0x1
	global_load_b64 v[12:13], v2, s[2:3] offset:40
	global_load_b128 v[6:9], v2, s[2:3]
	s_waitcnt vmcnt(1)
	v_readfirstlane_b32 s6, v12
	v_readfirstlane_b32 s7, v13
	s_delay_alu instid0(VALU_DEP_1) | instskip(NEXT) | instid1(SALU_CYCLE_1)
	s_and_b64 s[6:7], s[4:5], s[6:7]
	s_mul_i32 s10, s7, 24
	s_mul_hi_u32 s11, s6, 24
	s_mul_i32 s12, s6, 24
	s_add_i32 s11, s11, s10
	s_waitcnt vmcnt(0)
	v_add_co_u32 v10, vcc_lo, v6, s12
	v_add_co_ci_u32_e32 v11, vcc_lo, s11, v7, vcc_lo
	s_and_saveexec_b32 s10, s0
	s_cbranch_execz .LBB1_230
; %bb.229:
	v_dual_mov_b32 v12, s1 :: v_dual_mov_b32 v13, v2
	v_dual_mov_b32 v14, 2 :: v_dual_mov_b32 v15, 1
	global_store_b128 v[10:11], v[12:15], off offset:8
.LBB1_230:
	s_or_b32 exec_lo, exec_lo, s10
	s_lshl_b64 s[6:7], s[6:7], 12
	s_mov_b32 s12, 0
	v_add_co_u32 v8, vcc_lo, v8, s6
	v_add_co_ci_u32_e32 v9, vcc_lo, s7, v9, vcc_lo
	s_mov_b32 s13, s12
	s_delay_alu instid0(VALU_DEP_2)
	v_readfirstlane_b32 s6, v8
	v_add_co_u32 v8, vcc_lo, v8, v34
	s_mov_b32 s14, s12
	s_mov_b32 s15, s12
	v_and_or_b32 v0, 0xffffff1f, v0, 32
	v_dual_mov_b32 v3, v2 :: v_dual_mov_b32 v12, s12
	v_readfirstlane_b32 s7, v9
	v_add_co_ci_u32_e32 v9, vcc_lo, 0, v9, vcc_lo
	v_dual_mov_b32 v13, s13 :: v_dual_mov_b32 v14, s14
	v_mov_b32_e32 v15, s15
	s_clause 0x3
	global_store_b128 v34, v[0:3], s[6:7]
	global_store_b128 v34, v[12:15], s[6:7] offset:16
	global_store_b128 v34, v[12:15], s[6:7] offset:32
	;; [unrolled: 1-line block ×3, first 2 shown]
	s_and_saveexec_b32 s1, s0
	s_cbranch_execz .LBB1_238
; %bb.231:
	v_dual_mov_b32 v12, 0 :: v_dual_mov_b32 v13, s4
	v_mov_b32_e32 v14, s5
	s_clause 0x1
	global_load_b64 v[15:16], v12, s[2:3] offset:32 glc
	global_load_b64 v[0:1], v12, s[2:3] offset:40
	s_waitcnt vmcnt(0)
	v_readfirstlane_b32 s6, v0
	v_readfirstlane_b32 s7, v1
	s_delay_alu instid0(VALU_DEP_1) | instskip(NEXT) | instid1(SALU_CYCLE_1)
	s_and_b64 s[6:7], s[6:7], s[4:5]
	s_mul_i32 s7, s7, 24
	s_mul_hi_u32 s10, s6, 24
	s_mul_i32 s6, s6, 24
	s_add_i32 s10, s10, s7
	v_add_co_u32 v6, vcc_lo, v6, s6
	v_add_co_ci_u32_e32 v7, vcc_lo, s10, v7, vcc_lo
	s_mov_b32 s6, exec_lo
	global_store_b64 v[6:7], v[15:16], off
	s_waitcnt_vscnt null, 0x0
	global_atomic_cmpswap_b64 v[2:3], v12, v[13:16], s[2:3] offset:32 glc
	s_waitcnt vmcnt(0)
	v_cmpx_ne_u64_e64 v[2:3], v[15:16]
	s_cbranch_execz .LBB1_234
; %bb.232:
	s_mov_b32 s7, 0
.LBB1_233:                              ; =>This Inner Loop Header: Depth=1
	v_dual_mov_b32 v0, s4 :: v_dual_mov_b32 v1, s5
	s_sleep 1
	global_store_b64 v[6:7], v[2:3], off
	s_waitcnt_vscnt null, 0x0
	global_atomic_cmpswap_b64 v[0:1], v12, v[0:3], s[2:3] offset:32 glc
	s_waitcnt vmcnt(0)
	v_cmp_eq_u64_e32 vcc_lo, v[0:1], v[2:3]
	v_dual_mov_b32 v3, v1 :: v_dual_mov_b32 v2, v0
	s_or_b32 s7, vcc_lo, s7
	s_delay_alu instid0(SALU_CYCLE_1)
	s_and_not1_b32 exec_lo, exec_lo, s7
	s_cbranch_execnz .LBB1_233
.LBB1_234:
	s_or_b32 exec_lo, exec_lo, s6
	v_mov_b32_e32 v3, 0
	s_mov_b32 s7, exec_lo
	s_mov_b32 s6, exec_lo
	v_mbcnt_lo_u32_b32 v2, s7, 0
	global_load_b64 v[0:1], v3, s[2:3] offset:16
	v_cmpx_eq_u32_e32 0, v2
	s_cbranch_execz .LBB1_236
; %bb.235:
	s_bcnt1_i32_b32 s7, s7
	s_delay_alu instid0(SALU_CYCLE_1)
	v_mov_b32_e32 v2, s7
	s_waitcnt vmcnt(0)
	global_atomic_add_u64 v[0:1], v[2:3], off offset:8
.LBB1_236:
	s_or_b32 exec_lo, exec_lo, s6
	s_waitcnt vmcnt(0)
	global_load_b64 v[2:3], v[0:1], off offset:16
	s_waitcnt vmcnt(0)
	v_cmp_eq_u64_e32 vcc_lo, 0, v[2:3]
	s_cbranch_vccnz .LBB1_238
; %bb.237:
	global_load_b32 v0, v[0:1], off offset:24
	s_waitcnt vmcnt(0)
	v_dual_mov_b32 v1, 0 :: v_dual_and_b32 v6, 0xffffff, v0
	s_waitcnt_vscnt null, 0x0
	global_store_b64 v[2:3], v[0:1], off
	v_readfirstlane_b32 m0, v6
	s_sendmsg sendmsg(MSG_INTERRUPT)
.LBB1_238:
	s_or_b32 exec_lo, exec_lo, s1
	s_branch .LBB1_242
	.p2align	6
.LBB1_239:                              ;   in Loop: Header=BB1_242 Depth=1
	s_or_b32 exec_lo, exec_lo, s1
	s_delay_alu instid0(VALU_DEP_1) | instskip(NEXT) | instid1(VALU_DEP_1)
	v_readfirstlane_b32 s1, v0
	s_cmp_eq_u32 s1, 0
	s_cbranch_scc1 .LBB1_241
; %bb.240:                              ;   in Loop: Header=BB1_242 Depth=1
	s_sleep 1
	s_cbranch_execnz .LBB1_242
	s_branch .LBB1_244
	.p2align	6
.LBB1_241:
	s_branch .LBB1_244
.LBB1_242:                              ; =>This Inner Loop Header: Depth=1
	v_mov_b32_e32 v0, 1
	s_and_saveexec_b32 s1, s0
	s_cbranch_execz .LBB1_239
; %bb.243:                              ;   in Loop: Header=BB1_242 Depth=1
	global_load_b32 v0, v[10:11], off offset:20 glc
	s_waitcnt vmcnt(0)
	buffer_gl1_inv
	buffer_gl0_inv
	v_and_b32_e32 v0, 1, v0
	s_branch .LBB1_239
.LBB1_244:
	global_load_b64 v[6:7], v[8:9], off
	s_and_saveexec_b32 s1, s0
	s_cbranch_execz .LBB1_248
; %bb.245:
	v_mov_b32_e32 v10, 0
	s_clause 0x2
	global_load_b64 v[2:3], v10, s[2:3] offset:40
	global_load_b64 v[11:12], v10, s[2:3] offset:24 glc
	global_load_b64 v[8:9], v10, s[2:3]
	s_waitcnt vmcnt(2)
	v_add_co_u32 v13, vcc_lo, v2, 1
	v_add_co_ci_u32_e32 v14, vcc_lo, 0, v3, vcc_lo
	s_delay_alu instid0(VALU_DEP_2) | instskip(NEXT) | instid1(VALU_DEP_2)
	v_add_co_u32 v0, vcc_lo, v13, s4
	v_add_co_ci_u32_e32 v1, vcc_lo, s5, v14, vcc_lo
	s_delay_alu instid0(VALU_DEP_1) | instskip(SKIP_1) | instid1(VALU_DEP_1)
	v_cmp_eq_u64_e32 vcc_lo, 0, v[0:1]
	v_dual_cndmask_b32 v1, v1, v14 :: v_dual_cndmask_b32 v0, v0, v13
	v_and_b32_e32 v3, v1, v3
	s_delay_alu instid0(VALU_DEP_2) | instskip(NEXT) | instid1(VALU_DEP_2)
	v_and_b32_e32 v2, v0, v2
	v_mul_lo_u32 v3, v3, 24
	s_delay_alu instid0(VALU_DEP_2) | instskip(SKIP_1) | instid1(VALU_DEP_2)
	v_mul_hi_u32 v13, v2, 24
	v_mul_lo_u32 v2, v2, 24
	v_add_nc_u32_e32 v3, v13, v3
	s_waitcnt vmcnt(0)
	s_delay_alu instid0(VALU_DEP_2) | instskip(SKIP_1) | instid1(VALU_DEP_3)
	v_add_co_u32 v8, vcc_lo, v8, v2
	v_mov_b32_e32 v2, v11
	v_add_co_ci_u32_e32 v9, vcc_lo, v9, v3, vcc_lo
	v_mov_b32_e32 v3, v12
	global_store_b64 v[8:9], v[11:12], off
	s_waitcnt_vscnt null, 0x0
	global_atomic_cmpswap_b64 v[2:3], v10, v[0:3], s[2:3] offset:24 glc
	s_waitcnt vmcnt(0)
	v_cmp_ne_u64_e32 vcc_lo, v[2:3], v[11:12]
	s_and_b32 exec_lo, exec_lo, vcc_lo
	s_cbranch_execz .LBB1_248
; %bb.246:
	s_mov_b32 s0, 0
.LBB1_247:                              ; =>This Inner Loop Header: Depth=1
	s_sleep 1
	global_store_b64 v[8:9], v[2:3], off
	s_waitcnt_vscnt null, 0x0
	global_atomic_cmpswap_b64 v[11:12], v10, v[0:3], s[2:3] offset:24 glc
	s_waitcnt vmcnt(0)
	v_cmp_eq_u64_e32 vcc_lo, v[11:12], v[2:3]
	v_dual_mov_b32 v2, v11 :: v_dual_mov_b32 v3, v12
	s_or_b32 s0, vcc_lo, s0
	s_delay_alu instid0(SALU_CYCLE_1)
	s_and_not1_b32 exec_lo, exec_lo, s0
	s_cbranch_execnz .LBB1_247
.LBB1_248:
	s_or_b32 exec_lo, exec_lo, s1
.LBB1_249:
	v_readfirstlane_b32 s0, v35
	v_mov_b32_e32 v10, 0
	v_mov_b32_e32 v11, 0
	s_delay_alu instid0(VALU_DEP_3) | instskip(NEXT) | instid1(VALU_DEP_1)
	v_cmp_eq_u32_e64 s0, s0, v35
	s_and_saveexec_b32 s1, s0
	s_cbranch_execz .LBB1_255
; %bb.250:
	s_waitcnt vmcnt(0)
	v_mov_b32_e32 v0, 0
	s_mov_b32 s4, exec_lo
	global_load_b64 v[12:13], v0, s[2:3] offset:24 glc
	s_waitcnt vmcnt(0)
	buffer_gl1_inv
	buffer_gl0_inv
	s_clause 0x1
	global_load_b64 v[1:2], v0, s[2:3] offset:40
	global_load_b64 v[8:9], v0, s[2:3]
	s_waitcnt vmcnt(1)
	v_and_b32_e32 v1, v1, v12
	v_and_b32_e32 v2, v2, v13
	s_delay_alu instid0(VALU_DEP_2) | instskip(NEXT) | instid1(VALU_DEP_2)
	v_mul_hi_u32 v3, v1, 24
	v_mul_lo_u32 v2, v2, 24
	v_mul_lo_u32 v1, v1, 24
	s_delay_alu instid0(VALU_DEP_2) | instskip(SKIP_1) | instid1(VALU_DEP_2)
	v_add_nc_u32_e32 v2, v3, v2
	s_waitcnt vmcnt(0)
	v_add_co_u32 v1, vcc_lo, v8, v1
	s_delay_alu instid0(VALU_DEP_2)
	v_add_co_ci_u32_e32 v2, vcc_lo, v9, v2, vcc_lo
	global_load_b64 v[10:11], v[1:2], off glc
	s_waitcnt vmcnt(0)
	global_atomic_cmpswap_b64 v[10:11], v0, v[10:13], s[2:3] offset:24 glc
	s_waitcnt vmcnt(0)
	buffer_gl1_inv
	buffer_gl0_inv
	v_cmpx_ne_u64_e64 v[10:11], v[12:13]
	s_cbranch_execz .LBB1_254
; %bb.251:
	s_mov_b32 s5, 0
	.p2align	6
.LBB1_252:                              ; =>This Inner Loop Header: Depth=1
	s_sleep 1
	s_clause 0x1
	global_load_b64 v[1:2], v0, s[2:3] offset:40
	global_load_b64 v[8:9], v0, s[2:3]
	v_dual_mov_b32 v13, v11 :: v_dual_mov_b32 v12, v10
	s_waitcnt vmcnt(1)
	s_delay_alu instid0(VALU_DEP_1) | instskip(SKIP_1) | instid1(VALU_DEP_1)
	v_and_b32_e32 v1, v1, v12
	s_waitcnt vmcnt(0)
	v_mad_u64_u32 v[10:11], null, v1, 24, v[8:9]
	s_delay_alu instid0(VALU_DEP_1) | instskip(NEXT) | instid1(VALU_DEP_1)
	v_dual_mov_b32 v1, v11 :: v_dual_and_b32 v8, v2, v13
	v_mad_u64_u32 v[2:3], null, v8, 24, v[1:2]
	s_delay_alu instid0(VALU_DEP_1)
	v_mov_b32_e32 v11, v2
	global_load_b64 v[10:11], v[10:11], off glc
	s_waitcnt vmcnt(0)
	global_atomic_cmpswap_b64 v[10:11], v0, v[10:13], s[2:3] offset:24 glc
	s_waitcnt vmcnt(0)
	buffer_gl1_inv
	buffer_gl0_inv
	v_cmp_eq_u64_e32 vcc_lo, v[10:11], v[12:13]
	s_or_b32 s5, vcc_lo, s5
	s_delay_alu instid0(SALU_CYCLE_1)
	s_and_not1_b32 exec_lo, exec_lo, s5
	s_cbranch_execnz .LBB1_252
; %bb.253:
	s_or_b32 exec_lo, exec_lo, s5
.LBB1_254:
	s_delay_alu instid0(SALU_CYCLE_1)
	s_or_b32 exec_lo, exec_lo, s4
.LBB1_255:
	s_delay_alu instid0(SALU_CYCLE_1)
	s_or_b32 exec_lo, exec_lo, s1
	s_waitcnt vmcnt(0)
	v_mov_b32_e32 v9, 0
	v_readfirstlane_b32 s4, v10
	v_readfirstlane_b32 s5, v11
	s_mov_b32 s1, exec_lo
	s_clause 0x1
	global_load_b64 v[12:13], v9, s[2:3] offset:40
	global_load_b128 v[0:3], v9, s[2:3]
	s_waitcnt vmcnt(1)
	v_readfirstlane_b32 s6, v12
	v_readfirstlane_b32 s7, v13
	s_delay_alu instid0(VALU_DEP_1) | instskip(NEXT) | instid1(SALU_CYCLE_1)
	s_and_b64 s[6:7], s[4:5], s[6:7]
	s_mul_i32 s10, s7, 24
	s_mul_hi_u32 s11, s6, 24
	s_mul_i32 s12, s6, 24
	s_add_i32 s11, s11, s10
	s_waitcnt vmcnt(0)
	v_add_co_u32 v10, vcc_lo, v0, s12
	v_add_co_ci_u32_e32 v11, vcc_lo, s11, v1, vcc_lo
	s_and_saveexec_b32 s10, s0
	s_cbranch_execz .LBB1_257
; %bb.256:
	v_dual_mov_b32 v8, s1 :: v_dual_mov_b32 v15, 1
	v_dual_mov_b32 v14, 2 :: v_dual_mov_b32 v13, v9
	s_delay_alu instid0(VALU_DEP_2)
	v_mov_b32_e32 v12, v8
	global_store_b128 v[10:11], v[12:15], off offset:8
.LBB1_257:
	s_or_b32 exec_lo, exec_lo, s10
	s_lshl_b64 s[6:7], s[6:7], 12
	s_mov_b32 s12, 0
	v_add_co_u32 v2, vcc_lo, v2, s6
	v_add_co_ci_u32_e32 v3, vcc_lo, s7, v3, vcc_lo
	s_mov_b32 s15, s12
	s_delay_alu instid0(VALU_DEP_2)
	v_add_co_u32 v12, vcc_lo, v2, v34
	s_mov_b32 s13, s12
	s_mov_b32 s14, s12
	v_and_or_b32 v6, 0xffffff1f, v6, 32
	v_dual_mov_b32 v8, 0x331 :: v_dual_mov_b32 v17, s15
	v_readfirstlane_b32 s6, v2
	v_readfirstlane_b32 s7, v3
	v_add_co_ci_u32_e32 v13, vcc_lo, 0, v3, vcc_lo
	v_dual_mov_b32 v16, s14 :: v_dual_mov_b32 v15, s13
	v_mov_b32_e32 v14, s12
	s_clause 0x3
	global_store_b128 v34, v[6:9], s[6:7]
	global_store_b128 v34, v[14:17], s[6:7] offset:16
	global_store_b128 v34, v[14:17], s[6:7] offset:32
	;; [unrolled: 1-line block ×3, first 2 shown]
	s_and_saveexec_b32 s1, s0
	s_cbranch_execz .LBB1_265
; %bb.258:
	v_dual_mov_b32 v8, 0 :: v_dual_mov_b32 v15, s5
	v_mov_b32_e32 v14, s4
	s_clause 0x1
	global_load_b64 v[16:17], v8, s[2:3] offset:32 glc
	global_load_b64 v[2:3], v8, s[2:3] offset:40
	s_waitcnt vmcnt(0)
	v_readfirstlane_b32 s6, v2
	v_readfirstlane_b32 s7, v3
	s_delay_alu instid0(VALU_DEP_1) | instskip(NEXT) | instid1(SALU_CYCLE_1)
	s_and_b64 s[6:7], s[6:7], s[4:5]
	s_mul_i32 s7, s7, 24
	s_mul_hi_u32 s10, s6, 24
	s_mul_i32 s6, s6, 24
	s_add_i32 s10, s10, s7
	v_add_co_u32 v6, vcc_lo, v0, s6
	v_add_co_ci_u32_e32 v7, vcc_lo, s10, v1, vcc_lo
	s_mov_b32 s6, exec_lo
	global_store_b64 v[6:7], v[16:17], off
	s_waitcnt_vscnt null, 0x0
	global_atomic_cmpswap_b64 v[2:3], v8, v[14:17], s[2:3] offset:32 glc
	s_waitcnt vmcnt(0)
	v_cmpx_ne_u64_e64 v[2:3], v[16:17]
	s_cbranch_execz .LBB1_261
; %bb.259:
	s_mov_b32 s7, 0
.LBB1_260:                              ; =>This Inner Loop Header: Depth=1
	v_dual_mov_b32 v0, s4 :: v_dual_mov_b32 v1, s5
	s_sleep 1
	global_store_b64 v[6:7], v[2:3], off
	s_waitcnt_vscnt null, 0x0
	global_atomic_cmpswap_b64 v[0:1], v8, v[0:3], s[2:3] offset:32 glc
	s_waitcnt vmcnt(0)
	v_cmp_eq_u64_e32 vcc_lo, v[0:1], v[2:3]
	v_dual_mov_b32 v3, v1 :: v_dual_mov_b32 v2, v0
	s_or_b32 s7, vcc_lo, s7
	s_delay_alu instid0(SALU_CYCLE_1)
	s_and_not1_b32 exec_lo, exec_lo, s7
	s_cbranch_execnz .LBB1_260
.LBB1_261:
	s_or_b32 exec_lo, exec_lo, s6
	v_mov_b32_e32 v3, 0
	s_mov_b32 s7, exec_lo
	s_mov_b32 s6, exec_lo
	v_mbcnt_lo_u32_b32 v2, s7, 0
	global_load_b64 v[0:1], v3, s[2:3] offset:16
	v_cmpx_eq_u32_e32 0, v2
	s_cbranch_execz .LBB1_263
; %bb.262:
	s_bcnt1_i32_b32 s7, s7
	s_delay_alu instid0(SALU_CYCLE_1)
	v_mov_b32_e32 v2, s7
	s_waitcnt vmcnt(0)
	global_atomic_add_u64 v[0:1], v[2:3], off offset:8
.LBB1_263:
	s_or_b32 exec_lo, exec_lo, s6
	s_waitcnt vmcnt(0)
	global_load_b64 v[2:3], v[0:1], off offset:16
	s_waitcnt vmcnt(0)
	v_cmp_eq_u64_e32 vcc_lo, 0, v[2:3]
	s_cbranch_vccnz .LBB1_265
; %bb.264:
	global_load_b32 v0, v[0:1], off offset:24
	s_waitcnt vmcnt(0)
	v_dual_mov_b32 v1, 0 :: v_dual_and_b32 v6, 0xffffff, v0
	s_waitcnt_vscnt null, 0x0
	global_store_b64 v[2:3], v[0:1], off
	v_readfirstlane_b32 m0, v6
	s_sendmsg sendmsg(MSG_INTERRUPT)
.LBB1_265:
	s_or_b32 exec_lo, exec_lo, s1
	s_branch .LBB1_269
	.p2align	6
.LBB1_266:                              ;   in Loop: Header=BB1_269 Depth=1
	s_or_b32 exec_lo, exec_lo, s1
	s_delay_alu instid0(VALU_DEP_1) | instskip(NEXT) | instid1(VALU_DEP_1)
	v_readfirstlane_b32 s1, v0
	s_cmp_eq_u32 s1, 0
	s_cbranch_scc1 .LBB1_268
; %bb.267:                              ;   in Loop: Header=BB1_269 Depth=1
	s_sleep 1
	s_cbranch_execnz .LBB1_269
	s_branch .LBB1_271
	.p2align	6
.LBB1_268:
	s_branch .LBB1_271
.LBB1_269:                              ; =>This Inner Loop Header: Depth=1
	v_mov_b32_e32 v0, 1
	s_and_saveexec_b32 s1, s0
	s_cbranch_execz .LBB1_266
; %bb.270:                              ;   in Loop: Header=BB1_269 Depth=1
	global_load_b32 v0, v[10:11], off offset:20 glc
	s_waitcnt vmcnt(0)
	buffer_gl1_inv
	buffer_gl0_inv
	v_and_b32_e32 v0, 1, v0
	s_branch .LBB1_266
.LBB1_271:
	global_load_b64 v[0:1], v[12:13], off
	s_and_saveexec_b32 s1, s0
	s_cbranch_execz .LBB1_275
; %bb.272:
	v_mov_b32_e32 v10, 0
	s_clause 0x2
	global_load_b64 v[2:3], v10, s[2:3] offset:40
	global_load_b64 v[11:12], v10, s[2:3] offset:24 glc
	global_load_b64 v[8:9], v10, s[2:3]
	s_waitcnt vmcnt(2)
	v_add_co_u32 v13, vcc_lo, v2, 1
	v_add_co_ci_u32_e32 v14, vcc_lo, 0, v3, vcc_lo
	s_delay_alu instid0(VALU_DEP_2) | instskip(NEXT) | instid1(VALU_DEP_2)
	v_add_co_u32 v6, vcc_lo, v13, s4
	v_add_co_ci_u32_e32 v7, vcc_lo, s5, v14, vcc_lo
	s_delay_alu instid0(VALU_DEP_1) | instskip(SKIP_1) | instid1(VALU_DEP_1)
	v_cmp_eq_u64_e32 vcc_lo, 0, v[6:7]
	v_dual_cndmask_b32 v7, v7, v14 :: v_dual_cndmask_b32 v6, v6, v13
	v_and_b32_e32 v3, v7, v3
	s_delay_alu instid0(VALU_DEP_2) | instskip(NEXT) | instid1(VALU_DEP_2)
	v_and_b32_e32 v2, v6, v2
	v_mul_lo_u32 v3, v3, 24
	s_delay_alu instid0(VALU_DEP_2) | instskip(SKIP_1) | instid1(VALU_DEP_2)
	v_mul_hi_u32 v13, v2, 24
	v_mul_lo_u32 v2, v2, 24
	v_add_nc_u32_e32 v3, v13, v3
	s_waitcnt vmcnt(0)
	s_delay_alu instid0(VALU_DEP_2) | instskip(SKIP_1) | instid1(VALU_DEP_3)
	v_add_co_u32 v2, vcc_lo, v8, v2
	v_mov_b32_e32 v8, v11
	v_add_co_ci_u32_e32 v3, vcc_lo, v9, v3, vcc_lo
	v_mov_b32_e32 v9, v12
	global_store_b64 v[2:3], v[11:12], off
	s_waitcnt_vscnt null, 0x0
	global_atomic_cmpswap_b64 v[8:9], v10, v[6:9], s[2:3] offset:24 glc
	s_waitcnt vmcnt(0)
	v_cmp_ne_u64_e32 vcc_lo, v[8:9], v[11:12]
	s_and_b32 exec_lo, exec_lo, vcc_lo
	s_cbranch_execz .LBB1_275
; %bb.273:
	s_mov_b32 s0, 0
.LBB1_274:                              ; =>This Inner Loop Header: Depth=1
	s_sleep 1
	global_store_b64 v[2:3], v[8:9], off
	s_waitcnt_vscnt null, 0x0
	global_atomic_cmpswap_b64 v[11:12], v10, v[6:9], s[2:3] offset:24 glc
	s_waitcnt vmcnt(0)
	v_cmp_eq_u64_e32 vcc_lo, v[11:12], v[8:9]
	v_dual_mov_b32 v8, v11 :: v_dual_mov_b32 v9, v12
	s_or_b32 s0, vcc_lo, s0
	s_delay_alu instid0(SALU_CYCLE_1)
	s_and_not1_b32 exec_lo, exec_lo, s0
	s_cbranch_execnz .LBB1_274
.LBB1_275:
	s_or_b32 exec_lo, exec_lo, s1
	v_dual_mov_b32 v7, v5 :: v_dual_mov_b32 v6, v4
	s_mov_b32 s0, 0
.LBB1_276:                              ; =>This Inner Loop Header: Depth=1
	flat_load_u8 v8, v[6:7]
	v_add_co_u32 v2, vcc_lo, v6, 1
	v_add_co_ci_u32_e32 v3, vcc_lo, 0, v7, vcc_lo
	s_delay_alu instid0(VALU_DEP_1) | instskip(SKIP_3) | instid1(SALU_CYCLE_1)
	v_dual_mov_b32 v7, v3 :: v_dual_mov_b32 v6, v2
	s_waitcnt vmcnt(0) lgkmcnt(0)
	v_cmp_eq_u16_e32 vcc_lo, 0, v8
	s_or_b32 s0, vcc_lo, s0
	s_and_not1_b32 exec_lo, exec_lo, s0
	s_cbranch_execnz .LBB1_276
; %bb.277:
	s_or_b32 exec_lo, exec_lo, s0
	s_delay_alu instid0(SALU_CYCLE_1)
	s_mov_b32 s0, exec_lo
	v_cmpx_ne_u64_e32 0, v[4:5]
	s_xor_b32 s10, exec_lo, s0
	s_cbranch_execz .LBB1_363
; %bb.278:
	v_sub_nc_u32_e32 v26, v2, v4
	v_dual_mov_b32 v7, 0 :: v_dual_and_b32 v32, 2, v0
	v_dual_mov_b32 v9, 1 :: v_dual_and_b32 v0, -3, v0
	v_mov_b32_e32 v8, 2
	s_delay_alu instid0(VALU_DEP_4)
	v_ashrrev_i32_e32 v27, 31, v26
	s_mov_b32 s12, 0
	s_mov_b32 s11, 0
	s_branch .LBB1_280
.LBB1_279:                              ;   in Loop: Header=BB1_280 Depth=1
	s_or_b32 exec_lo, exec_lo, s1
	v_sub_co_u32 v26, vcc_lo, v26, v28
	v_sub_co_ci_u32_e32 v27, vcc_lo, v27, v29, vcc_lo
	v_add_co_u32 v4, s0, v4, v28
	s_delay_alu instid0(VALU_DEP_1) | instskip(NEXT) | instid1(VALU_DEP_3)
	v_add_co_ci_u32_e64 v5, s0, v5, v29, s0
	v_cmp_eq_u64_e32 vcc_lo, 0, v[26:27]
	s_or_b32 s11, vcc_lo, s11
	s_delay_alu instid0(SALU_CYCLE_1)
	s_and_not1_b32 exec_lo, exec_lo, s11
	s_cbranch_execz .LBB1_362
.LBB1_280:                              ; =>This Loop Header: Depth=1
                                        ;     Child Loop BB1_283 Depth 2
                                        ;     Child Loop BB1_291 Depth 2
	;; [unrolled: 1-line block ×11, first 2 shown]
	s_delay_alu instid0(VALU_DEP_1)
	v_cmp_gt_u64_e32 vcc_lo, 56, v[26:27]
	s_mov_b32 s1, exec_lo
                                        ; implicit-def: $vgpr2_vgpr3
                                        ; implicit-def: $sgpr4
	v_dual_cndmask_b32 v29, 0, v27 :: v_dual_cndmask_b32 v28, 56, v26
	v_cmpx_gt_u64_e32 8, v[26:27]
	s_xor_b32 s1, exec_lo, s1
	s_cbranch_execz .LBB1_286
; %bb.281:                              ;   in Loop: Header=BB1_280 Depth=1
	s_waitcnt vmcnt(0)
	v_mov_b32_e32 v2, 0
	v_mov_b32_e32 v3, 0
	s_mov_b64 s[4:5], 0
	s_mov_b32 s6, exec_lo
	v_cmpx_ne_u64_e32 0, v[26:27]
	s_cbranch_execz .LBB1_285
; %bb.282:                              ;   in Loop: Header=BB1_280 Depth=1
	v_lshlrev_b64 v[10:11], 3, v[28:29]
	v_mov_b32_e32 v2, 0
	v_dual_mov_b32 v3, 0 :: v_dual_mov_b32 v12, v5
	v_mov_b32_e32 v11, v4
	s_mov_b32 s7, 0
	.p2align	6
.LBB1_283:                              ;   Parent Loop BB1_280 Depth=1
                                        ; =>  This Inner Loop Header: Depth=2
	flat_load_u8 v6, v[11:12]
	v_mov_b32_e32 v14, s12
	v_add_co_u32 v11, vcc_lo, v11, 1
	v_add_co_ci_u32_e32 v12, vcc_lo, 0, v12, vcc_lo
	s_waitcnt vmcnt(0) lgkmcnt(0)
	v_and_b32_e32 v13, 0xffff, v6
	s_delay_alu instid0(VALU_DEP_1) | instskip(SKIP_3) | instid1(VALU_DEP_2)
	v_lshlrev_b64 v[13:14], s4, v[13:14]
	s_add_u32 s4, s4, 8
	s_addc_u32 s5, s5, 0
	v_cmp_eq_u32_e64 s0, s4, v10
	v_or_b32_e32 v3, v14, v3
	s_delay_alu instid0(VALU_DEP_3) | instskip(NEXT) | instid1(VALU_DEP_3)
	v_or_b32_e32 v2, v13, v2
	s_or_b32 s7, s0, s7
	s_delay_alu instid0(SALU_CYCLE_1)
	s_and_not1_b32 exec_lo, exec_lo, s7
	s_cbranch_execnz .LBB1_283
; %bb.284:                              ;   in Loop: Header=BB1_280 Depth=1
	s_or_b32 exec_lo, exec_lo, s7
.LBB1_285:                              ;   in Loop: Header=BB1_280 Depth=1
	s_delay_alu instid0(SALU_CYCLE_1)
	s_or_b32 exec_lo, exec_lo, s6
	s_mov_b32 s4, 0
.LBB1_286:                              ;   in Loop: Header=BB1_280 Depth=1
	s_or_saveexec_b32 s0, s1
	v_dual_mov_b32 v6, s4 :: v_dual_mov_b32 v23, v5
	v_mov_b32_e32 v22, v4
	s_xor_b32 exec_lo, exec_lo, s0
	s_cbranch_execz .LBB1_288
; %bb.287:                              ;   in Loop: Header=BB1_280 Depth=1
	s_waitcnt vmcnt(0)
	flat_load_b64 v[2:3], v[4:5]
	v_add_co_u32 v22, vcc_lo, v4, 8
	v_add_co_ci_u32_e32 v23, vcc_lo, 0, v5, vcc_lo
	s_waitcnt vmcnt(0) lgkmcnt(0)
	v_and_b32_e32 v6, 0xff, v3
	v_and_b32_e32 v10, 0xff00, v3
	;; [unrolled: 1-line block ×4, first 2 shown]
	v_or3_b32 v2, v2, 0, 0
	s_delay_alu instid0(VALU_DEP_4) | instskip(SKIP_1) | instid1(VALU_DEP_2)
	v_or_b32_e32 v10, v6, v10
	v_add_nc_u32_e32 v6, -8, v28
	v_or3_b32 v3, v10, v11, v3
.LBB1_288:                              ;   in Loop: Header=BB1_280 Depth=1
	s_or_b32 exec_lo, exec_lo, s0
                                        ; implicit-def: $vgpr10_vgpr11
                                        ; implicit-def: $sgpr1
	s_delay_alu instid0(SALU_CYCLE_1) | instskip(NEXT) | instid1(VALU_DEP_2)
	s_mov_b32 s0, exec_lo
	v_cmpx_gt_u32_e32 8, v6
	s_xor_b32 s6, exec_lo, s0
	s_cbranch_execz .LBB1_294
; %bb.289:                              ;   in Loop: Header=BB1_280 Depth=1
	v_mov_b32_e32 v10, 0
	v_mov_b32_e32 v11, 0
	s_mov_b32 s7, exec_lo
	v_cmpx_ne_u32_e32 0, v6
	s_cbranch_execz .LBB1_293
; %bb.290:                              ;   in Loop: Header=BB1_280 Depth=1
	v_mov_b32_e32 v10, 0
	v_mov_b32_e32 v11, 0
	s_mov_b64 s[0:1], 0
	s_mov_b32 s13, 0
	s_mov_b64 s[4:5], 0
	.p2align	6
.LBB1_291:                              ;   Parent Loop BB1_280 Depth=1
                                        ; =>  This Inner Loop Header: Depth=2
	s_delay_alu instid0(SALU_CYCLE_1)
	v_add_co_u32 v12, vcc_lo, v22, s4
	v_add_co_ci_u32_e32 v13, vcc_lo, s5, v23, vcc_lo
	s_add_u32 s4, s4, 1
	s_addc_u32 s5, s5, 0
	v_cmp_eq_u32_e32 vcc_lo, s4, v6
	flat_load_u8 v12, v[12:13]
	s_waitcnt vmcnt(0) lgkmcnt(0)
	v_dual_mov_b32 v13, s12 :: v_dual_and_b32 v12, 0xffff, v12
	s_delay_alu instid0(VALU_DEP_1) | instskip(SKIP_3) | instid1(VALU_DEP_1)
	v_lshlrev_b64 v[12:13], s0, v[12:13]
	s_add_u32 s0, s0, 8
	s_addc_u32 s1, s1, 0
	s_or_b32 s13, vcc_lo, s13
	v_or_b32_e32 v11, v13, v11
	s_delay_alu instid0(VALU_DEP_2)
	v_or_b32_e32 v10, v12, v10
	s_and_not1_b32 exec_lo, exec_lo, s13
	s_cbranch_execnz .LBB1_291
; %bb.292:                              ;   in Loop: Header=BB1_280 Depth=1
	s_or_b32 exec_lo, exec_lo, s13
.LBB1_293:                              ;   in Loop: Header=BB1_280 Depth=1
	s_delay_alu instid0(SALU_CYCLE_1)
	s_or_b32 exec_lo, exec_lo, s7
	s_mov_b32 s1, 0
                                        ; implicit-def: $vgpr6
.LBB1_294:                              ;   in Loop: Header=BB1_280 Depth=1
	s_or_saveexec_b32 s0, s6
	v_mov_b32_e32 v14, s1
	s_xor_b32 exec_lo, exec_lo, s0
	s_cbranch_execz .LBB1_296
; %bb.295:                              ;   in Loop: Header=BB1_280 Depth=1
	flat_load_b64 v[10:11], v[22:23]
	v_add_co_u32 v22, vcc_lo, v22, 8
	v_add_nc_u32_e32 v14, -8, v6
	v_add_co_ci_u32_e32 v23, vcc_lo, 0, v23, vcc_lo
	s_waitcnt vmcnt(0) lgkmcnt(0)
	v_and_b32_e32 v12, 0xff, v11
	v_and_b32_e32 v13, 0xff00, v11
	;; [unrolled: 1-line block ×4, first 2 shown]
	v_or3_b32 v10, v10, 0, 0
	s_delay_alu instid0(VALU_DEP_4) | instskip(NEXT) | instid1(VALU_DEP_1)
	v_or_b32_e32 v12, v12, v13
	v_or3_b32 v11, v12, v15, v11
.LBB1_296:                              ;   in Loop: Header=BB1_280 Depth=1
	s_or_b32 exec_lo, exec_lo, s0
                                        ; implicit-def: $sgpr1
	s_delay_alu instid0(SALU_CYCLE_1)
	s_mov_b32 s0, exec_lo
	v_cmpx_gt_u32_e32 8, v14
	s_xor_b32 s6, exec_lo, s0
	s_cbranch_execz .LBB1_302
; %bb.297:                              ;   in Loop: Header=BB1_280 Depth=1
	v_mov_b32_e32 v12, 0
	v_mov_b32_e32 v13, 0
	s_mov_b32 s7, exec_lo
	v_cmpx_ne_u32_e32 0, v14
	s_cbranch_execz .LBB1_301
; %bb.298:                              ;   in Loop: Header=BB1_280 Depth=1
	v_mov_b32_e32 v12, 0
	v_mov_b32_e32 v13, 0
	s_mov_b64 s[0:1], 0
	s_mov_b32 s13, 0
	s_mov_b64 s[4:5], 0
	.p2align	6
.LBB1_299:                              ;   Parent Loop BB1_280 Depth=1
                                        ; =>  This Inner Loop Header: Depth=2
	s_delay_alu instid0(SALU_CYCLE_1)
	v_add_co_u32 v15, vcc_lo, v22, s4
	v_add_co_ci_u32_e32 v16, vcc_lo, s5, v23, vcc_lo
	s_add_u32 s4, s4, 1
	s_addc_u32 s5, s5, 0
	v_cmp_eq_u32_e32 vcc_lo, s4, v14
	flat_load_u8 v6, v[15:16]
	s_waitcnt vmcnt(0) lgkmcnt(0)
	v_dual_mov_b32 v16, s12 :: v_dual_and_b32 v15, 0xffff, v6
	s_delay_alu instid0(VALU_DEP_1) | instskip(SKIP_3) | instid1(VALU_DEP_1)
	v_lshlrev_b64 v[15:16], s0, v[15:16]
	s_add_u32 s0, s0, 8
	s_addc_u32 s1, s1, 0
	s_or_b32 s13, vcc_lo, s13
	v_or_b32_e32 v13, v16, v13
	s_delay_alu instid0(VALU_DEP_2)
	v_or_b32_e32 v12, v15, v12
	s_and_not1_b32 exec_lo, exec_lo, s13
	s_cbranch_execnz .LBB1_299
; %bb.300:                              ;   in Loop: Header=BB1_280 Depth=1
	s_or_b32 exec_lo, exec_lo, s13
.LBB1_301:                              ;   in Loop: Header=BB1_280 Depth=1
	s_delay_alu instid0(SALU_CYCLE_1)
	s_or_b32 exec_lo, exec_lo, s7
	s_mov_b32 s1, 0
                                        ; implicit-def: $vgpr14
.LBB1_302:                              ;   in Loop: Header=BB1_280 Depth=1
	s_or_saveexec_b32 s0, s6
	v_mov_b32_e32 v6, s1
	s_xor_b32 exec_lo, exec_lo, s0
	s_cbranch_execz .LBB1_304
; %bb.303:                              ;   in Loop: Header=BB1_280 Depth=1
	flat_load_b64 v[12:13], v[22:23]
	v_add_co_u32 v22, vcc_lo, v22, 8
	v_add_co_ci_u32_e32 v23, vcc_lo, 0, v23, vcc_lo
	s_waitcnt vmcnt(0) lgkmcnt(0)
	v_and_b32_e32 v6, 0xff, v13
	v_and_b32_e32 v15, 0xff00, v13
	;; [unrolled: 1-line block ×4, first 2 shown]
	v_or3_b32 v12, v12, 0, 0
	s_delay_alu instid0(VALU_DEP_4) | instskip(SKIP_1) | instid1(VALU_DEP_2)
	v_or_b32_e32 v15, v6, v15
	v_add_nc_u32_e32 v6, -8, v14
	v_or3_b32 v13, v15, v16, v13
.LBB1_304:                              ;   in Loop: Header=BB1_280 Depth=1
	s_or_b32 exec_lo, exec_lo, s0
                                        ; implicit-def: $vgpr14_vgpr15
                                        ; implicit-def: $sgpr1
	s_delay_alu instid0(SALU_CYCLE_1) | instskip(NEXT) | instid1(VALU_DEP_1)
	s_mov_b32 s0, exec_lo
	v_cmpx_gt_u32_e32 8, v6
	s_xor_b32 s6, exec_lo, s0
	s_cbranch_execz .LBB1_310
; %bb.305:                              ;   in Loop: Header=BB1_280 Depth=1
	v_mov_b32_e32 v14, 0
	v_mov_b32_e32 v15, 0
	s_mov_b32 s7, exec_lo
	v_cmpx_ne_u32_e32 0, v6
	s_cbranch_execz .LBB1_309
; %bb.306:                              ;   in Loop: Header=BB1_280 Depth=1
	v_mov_b32_e32 v14, 0
	v_mov_b32_e32 v15, 0
	s_mov_b64 s[0:1], 0
	s_mov_b32 s13, 0
	s_mov_b64 s[4:5], 0
	.p2align	6
.LBB1_307:                              ;   Parent Loop BB1_280 Depth=1
                                        ; =>  This Inner Loop Header: Depth=2
	s_delay_alu instid0(SALU_CYCLE_1)
	v_add_co_u32 v16, vcc_lo, v22, s4
	v_add_co_ci_u32_e32 v17, vcc_lo, s5, v23, vcc_lo
	s_add_u32 s4, s4, 1
	s_addc_u32 s5, s5, 0
	v_cmp_eq_u32_e32 vcc_lo, s4, v6
	flat_load_u8 v16, v[16:17]
	s_waitcnt vmcnt(0) lgkmcnt(0)
	v_dual_mov_b32 v17, s12 :: v_dual_and_b32 v16, 0xffff, v16
	s_delay_alu instid0(VALU_DEP_1) | instskip(SKIP_3) | instid1(VALU_DEP_1)
	v_lshlrev_b64 v[16:17], s0, v[16:17]
	s_add_u32 s0, s0, 8
	s_addc_u32 s1, s1, 0
	s_or_b32 s13, vcc_lo, s13
	v_or_b32_e32 v15, v17, v15
	s_delay_alu instid0(VALU_DEP_2)
	v_or_b32_e32 v14, v16, v14
	s_and_not1_b32 exec_lo, exec_lo, s13
	s_cbranch_execnz .LBB1_307
; %bb.308:                              ;   in Loop: Header=BB1_280 Depth=1
	s_or_b32 exec_lo, exec_lo, s13
.LBB1_309:                              ;   in Loop: Header=BB1_280 Depth=1
	s_delay_alu instid0(SALU_CYCLE_1)
	s_or_b32 exec_lo, exec_lo, s7
	s_mov_b32 s1, 0
                                        ; implicit-def: $vgpr6
.LBB1_310:                              ;   in Loop: Header=BB1_280 Depth=1
	s_or_saveexec_b32 s0, s6
	v_mov_b32_e32 v18, s1
	s_xor_b32 exec_lo, exec_lo, s0
	s_cbranch_execz .LBB1_312
; %bb.311:                              ;   in Loop: Header=BB1_280 Depth=1
	flat_load_b64 v[14:15], v[22:23]
	v_add_co_u32 v22, vcc_lo, v22, 8
	v_add_nc_u32_e32 v18, -8, v6
	v_add_co_ci_u32_e32 v23, vcc_lo, 0, v23, vcc_lo
	s_waitcnt vmcnt(0) lgkmcnt(0)
	v_and_b32_e32 v16, 0xff, v15
	v_and_b32_e32 v17, 0xff00, v15
	;; [unrolled: 1-line block ×4, first 2 shown]
	v_or3_b32 v14, v14, 0, 0
	s_delay_alu instid0(VALU_DEP_4) | instskip(NEXT) | instid1(VALU_DEP_1)
	v_or_b32_e32 v16, v16, v17
	v_or3_b32 v15, v16, v19, v15
.LBB1_312:                              ;   in Loop: Header=BB1_280 Depth=1
	s_or_b32 exec_lo, exec_lo, s0
                                        ; implicit-def: $sgpr1
	s_delay_alu instid0(SALU_CYCLE_1)
	s_mov_b32 s0, exec_lo
	v_cmpx_gt_u32_e32 8, v18
	s_xor_b32 s6, exec_lo, s0
	s_cbranch_execz .LBB1_318
; %bb.313:                              ;   in Loop: Header=BB1_280 Depth=1
	v_mov_b32_e32 v16, 0
	v_mov_b32_e32 v17, 0
	s_mov_b32 s7, exec_lo
	v_cmpx_ne_u32_e32 0, v18
	s_cbranch_execz .LBB1_317
; %bb.314:                              ;   in Loop: Header=BB1_280 Depth=1
	v_mov_b32_e32 v16, 0
	v_mov_b32_e32 v17, 0
	s_mov_b64 s[0:1], 0
	s_mov_b32 s13, 0
	s_mov_b64 s[4:5], 0
	.p2align	6
.LBB1_315:                              ;   Parent Loop BB1_280 Depth=1
                                        ; =>  This Inner Loop Header: Depth=2
	s_delay_alu instid0(SALU_CYCLE_1)
	v_add_co_u32 v19, vcc_lo, v22, s4
	v_add_co_ci_u32_e32 v20, vcc_lo, s5, v23, vcc_lo
	s_add_u32 s4, s4, 1
	s_addc_u32 s5, s5, 0
	v_cmp_eq_u32_e32 vcc_lo, s4, v18
	flat_load_u8 v6, v[19:20]
	s_waitcnt vmcnt(0) lgkmcnt(0)
	v_dual_mov_b32 v20, s12 :: v_dual_and_b32 v19, 0xffff, v6
	s_delay_alu instid0(VALU_DEP_1) | instskip(SKIP_3) | instid1(VALU_DEP_1)
	v_lshlrev_b64 v[19:20], s0, v[19:20]
	s_add_u32 s0, s0, 8
	s_addc_u32 s1, s1, 0
	s_or_b32 s13, vcc_lo, s13
	v_or_b32_e32 v17, v20, v17
	s_delay_alu instid0(VALU_DEP_2)
	v_or_b32_e32 v16, v19, v16
	s_and_not1_b32 exec_lo, exec_lo, s13
	s_cbranch_execnz .LBB1_315
; %bb.316:                              ;   in Loop: Header=BB1_280 Depth=1
	s_or_b32 exec_lo, exec_lo, s13
.LBB1_317:                              ;   in Loop: Header=BB1_280 Depth=1
	s_delay_alu instid0(SALU_CYCLE_1)
	s_or_b32 exec_lo, exec_lo, s7
	s_mov_b32 s1, 0
                                        ; implicit-def: $vgpr18
.LBB1_318:                              ;   in Loop: Header=BB1_280 Depth=1
	s_or_saveexec_b32 s0, s6
	v_mov_b32_e32 v6, s1
	s_xor_b32 exec_lo, exec_lo, s0
	s_cbranch_execz .LBB1_320
; %bb.319:                              ;   in Loop: Header=BB1_280 Depth=1
	flat_load_b64 v[16:17], v[22:23]
	v_add_co_u32 v22, vcc_lo, v22, 8
	v_add_co_ci_u32_e32 v23, vcc_lo, 0, v23, vcc_lo
	s_waitcnt vmcnt(0) lgkmcnt(0)
	v_and_b32_e32 v6, 0xff, v17
	v_and_b32_e32 v19, 0xff00, v17
	v_and_b32_e32 v20, 0xff0000, v17
	v_and_b32_e32 v17, 0xff000000, v17
	v_or3_b32 v16, v16, 0, 0
	s_delay_alu instid0(VALU_DEP_4) | instskip(SKIP_1) | instid1(VALU_DEP_2)
	v_or_b32_e32 v19, v6, v19
	v_add_nc_u32_e32 v6, -8, v18
	v_or3_b32 v17, v19, v20, v17
.LBB1_320:                              ;   in Loop: Header=BB1_280 Depth=1
	s_or_b32 exec_lo, exec_lo, s0
                                        ; implicit-def: $vgpr18_vgpr19
                                        ; implicit-def: $sgpr1
	s_delay_alu instid0(SALU_CYCLE_1) | instskip(NEXT) | instid1(VALU_DEP_1)
	s_mov_b32 s0, exec_lo
	v_cmpx_gt_u32_e32 8, v6
	s_xor_b32 s6, exec_lo, s0
	s_cbranch_execz .LBB1_326
; %bb.321:                              ;   in Loop: Header=BB1_280 Depth=1
	v_mov_b32_e32 v18, 0
	v_mov_b32_e32 v19, 0
	s_mov_b32 s7, exec_lo
	v_cmpx_ne_u32_e32 0, v6
	s_cbranch_execz .LBB1_325
; %bb.322:                              ;   in Loop: Header=BB1_280 Depth=1
	v_mov_b32_e32 v18, 0
	v_mov_b32_e32 v19, 0
	s_mov_b64 s[0:1], 0
	s_mov_b32 s13, 0
	s_mov_b64 s[4:5], 0
	.p2align	6
.LBB1_323:                              ;   Parent Loop BB1_280 Depth=1
                                        ; =>  This Inner Loop Header: Depth=2
	s_delay_alu instid0(SALU_CYCLE_1)
	v_add_co_u32 v20, vcc_lo, v22, s4
	v_add_co_ci_u32_e32 v21, vcc_lo, s5, v23, vcc_lo
	s_add_u32 s4, s4, 1
	s_addc_u32 s5, s5, 0
	v_cmp_eq_u32_e32 vcc_lo, s4, v6
	flat_load_u8 v20, v[20:21]
	s_waitcnt vmcnt(0) lgkmcnt(0)
	v_dual_mov_b32 v21, s12 :: v_dual_and_b32 v20, 0xffff, v20
	s_delay_alu instid0(VALU_DEP_1) | instskip(SKIP_3) | instid1(VALU_DEP_1)
	v_lshlrev_b64 v[20:21], s0, v[20:21]
	s_add_u32 s0, s0, 8
	s_addc_u32 s1, s1, 0
	s_or_b32 s13, vcc_lo, s13
	v_or_b32_e32 v19, v21, v19
	s_delay_alu instid0(VALU_DEP_2)
	v_or_b32_e32 v18, v20, v18
	s_and_not1_b32 exec_lo, exec_lo, s13
	s_cbranch_execnz .LBB1_323
; %bb.324:                              ;   in Loop: Header=BB1_280 Depth=1
	s_or_b32 exec_lo, exec_lo, s13
.LBB1_325:                              ;   in Loop: Header=BB1_280 Depth=1
	s_delay_alu instid0(SALU_CYCLE_1)
	s_or_b32 exec_lo, exec_lo, s7
	s_mov_b32 s1, 0
                                        ; implicit-def: $vgpr6
.LBB1_326:                              ;   in Loop: Header=BB1_280 Depth=1
	s_or_saveexec_b32 s0, s6
	v_mov_b32_e32 v24, s1
	s_xor_b32 exec_lo, exec_lo, s0
	s_cbranch_execz .LBB1_328
; %bb.327:                              ;   in Loop: Header=BB1_280 Depth=1
	flat_load_b64 v[18:19], v[22:23]
	v_add_co_u32 v22, vcc_lo, v22, 8
	v_add_nc_u32_e32 v24, -8, v6
	v_add_co_ci_u32_e32 v23, vcc_lo, 0, v23, vcc_lo
	s_waitcnt vmcnt(0) lgkmcnt(0)
	v_and_b32_e32 v20, 0xff, v19
	v_and_b32_e32 v21, 0xff00, v19
	;; [unrolled: 1-line block ×4, first 2 shown]
	v_or3_b32 v18, v18, 0, 0
	s_delay_alu instid0(VALU_DEP_4) | instskip(NEXT) | instid1(VALU_DEP_1)
	v_or_b32_e32 v20, v20, v21
	v_or3_b32 v19, v20, v25, v19
.LBB1_328:                              ;   in Loop: Header=BB1_280 Depth=1
	s_or_b32 exec_lo, exec_lo, s0
	s_delay_alu instid0(SALU_CYCLE_1)
	s_mov_b32 s0, exec_lo
	v_cmpx_gt_u32_e32 8, v24
	s_xor_b32 s4, exec_lo, s0
	s_cbranch_execz .LBB1_334
; %bb.329:                              ;   in Loop: Header=BB1_280 Depth=1
	v_mov_b32_e32 v20, 0
	v_mov_b32_e32 v21, 0
	s_mov_b32 s5, exec_lo
	v_cmpx_ne_u32_e32 0, v24
	s_cbranch_execz .LBB1_333
; %bb.330:                              ;   in Loop: Header=BB1_280 Depth=1
	v_mov_b32_e32 v20, 0
	v_mov_b32_e32 v21, 0
	s_mov_b64 s[0:1], 0
	s_mov_b32 s6, 0
	.p2align	6
.LBB1_331:                              ;   Parent Loop BB1_280 Depth=1
                                        ; =>  This Inner Loop Header: Depth=2
	flat_load_u8 v6, v[22:23]
	v_dual_mov_b32 v31, s12 :: v_dual_add_nc_u32 v24, -1, v24
	v_add_co_u32 v22, vcc_lo, v22, 1
	v_add_co_ci_u32_e32 v23, vcc_lo, 0, v23, vcc_lo
	s_delay_alu instid0(VALU_DEP_3) | instskip(SKIP_2) | instid1(VALU_DEP_1)
	v_cmp_eq_u32_e32 vcc_lo, 0, v24
	s_waitcnt vmcnt(0) lgkmcnt(0)
	v_and_b32_e32 v30, 0xffff, v6
	v_lshlrev_b64 v[30:31], s0, v[30:31]
	s_add_u32 s0, s0, 8
	s_addc_u32 s1, s1, 0
	s_or_b32 s6, vcc_lo, s6
	s_delay_alu instid0(VALU_DEP_1) | instskip(NEXT) | instid1(VALU_DEP_2)
	v_or_b32_e32 v21, v31, v21
	v_or_b32_e32 v20, v30, v20
	s_and_not1_b32 exec_lo, exec_lo, s6
	s_cbranch_execnz .LBB1_331
; %bb.332:                              ;   in Loop: Header=BB1_280 Depth=1
	s_or_b32 exec_lo, exec_lo, s6
.LBB1_333:                              ;   in Loop: Header=BB1_280 Depth=1
	s_delay_alu instid0(SALU_CYCLE_1)
	s_or_b32 exec_lo, exec_lo, s5
                                        ; implicit-def: $vgpr22_vgpr23
.LBB1_334:                              ;   in Loop: Header=BB1_280 Depth=1
	s_and_not1_saveexec_b32 s0, s4
	s_cbranch_execz .LBB1_336
; %bb.335:                              ;   in Loop: Header=BB1_280 Depth=1
	flat_load_b64 v[20:21], v[22:23]
	s_waitcnt vmcnt(0) lgkmcnt(0)
	v_and_b32_e32 v6, 0xff, v21
	v_and_b32_e32 v22, 0xff00, v21
	;; [unrolled: 1-line block ×4, first 2 shown]
	v_or3_b32 v20, v20, 0, 0
	s_delay_alu instid0(VALU_DEP_4) | instskip(NEXT) | instid1(VALU_DEP_1)
	v_or_b32_e32 v6, v6, v22
	v_or3_b32 v21, v6, v23, v21
.LBB1_336:                              ;   in Loop: Header=BB1_280 Depth=1
	s_or_b32 exec_lo, exec_lo, s0
	v_readfirstlane_b32 s0, v35
	v_mov_b32_e32 v30, 0
	v_mov_b32_e32 v31, 0
	s_delay_alu instid0(VALU_DEP_3) | instskip(NEXT) | instid1(VALU_DEP_1)
	v_cmp_eq_u32_e64 s0, s0, v35
	s_and_saveexec_b32 s1, s0
	s_cbranch_execz .LBB1_342
; %bb.337:                              ;   in Loop: Header=BB1_280 Depth=1
	global_load_b64 v[24:25], v7, s[2:3] offset:24 glc
	s_waitcnt vmcnt(0)
	buffer_gl1_inv
	buffer_gl0_inv
	s_clause 0x1
	global_load_b64 v[22:23], v7, s[2:3] offset:40
	global_load_b64 v[30:31], v7, s[2:3]
	s_mov_b32 s4, exec_lo
	s_waitcnt vmcnt(1)
	v_and_b32_e32 v6, v23, v25
	v_and_b32_e32 v22, v22, v24
	s_delay_alu instid0(VALU_DEP_2) | instskip(NEXT) | instid1(VALU_DEP_2)
	v_mul_lo_u32 v6, v6, 24
	v_mul_hi_u32 v23, v22, 24
	v_mul_lo_u32 v22, v22, 24
	s_delay_alu instid0(VALU_DEP_2) | instskip(SKIP_1) | instid1(VALU_DEP_2)
	v_add_nc_u32_e32 v6, v23, v6
	s_waitcnt vmcnt(0)
	v_add_co_u32 v22, vcc_lo, v30, v22
	s_delay_alu instid0(VALU_DEP_2)
	v_add_co_ci_u32_e32 v23, vcc_lo, v31, v6, vcc_lo
	global_load_b64 v[22:23], v[22:23], off glc
	s_waitcnt vmcnt(0)
	global_atomic_cmpswap_b64 v[30:31], v7, v[22:25], s[2:3] offset:24 glc
	s_waitcnt vmcnt(0)
	buffer_gl1_inv
	buffer_gl0_inv
	v_cmpx_ne_u64_e64 v[30:31], v[24:25]
	s_cbranch_execz .LBB1_341
; %bb.338:                              ;   in Loop: Header=BB1_280 Depth=1
	s_mov_b32 s5, 0
	.p2align	6
.LBB1_339:                              ;   Parent Loop BB1_280 Depth=1
                                        ; =>  This Inner Loop Header: Depth=2
	s_sleep 1
	s_clause 0x1
	global_load_b64 v[22:23], v7, s[2:3] offset:40
	global_load_b64 v[36:37], v7, s[2:3]
	v_dual_mov_b32 v24, v30 :: v_dual_mov_b32 v25, v31
	s_waitcnt vmcnt(1)
	s_delay_alu instid0(VALU_DEP_1) | instskip(NEXT) | instid1(VALU_DEP_2)
	v_and_b32_e32 v6, v22, v24
	v_and_b32_e32 v33, v23, v25
	s_waitcnt vmcnt(0)
	s_delay_alu instid0(VALU_DEP_2) | instskip(NEXT) | instid1(VALU_DEP_1)
	v_mad_u64_u32 v[30:31], null, v6, 24, v[36:37]
	v_mov_b32_e32 v6, v31
	s_delay_alu instid0(VALU_DEP_1) | instskip(NEXT) | instid1(VALU_DEP_1)
	v_mad_u64_u32 v[22:23], null, v33, 24, v[6:7]
	v_mov_b32_e32 v31, v22
	global_load_b64 v[22:23], v[30:31], off glc
	s_waitcnt vmcnt(0)
	global_atomic_cmpswap_b64 v[30:31], v7, v[22:25], s[2:3] offset:24 glc
	s_waitcnt vmcnt(0)
	buffer_gl1_inv
	buffer_gl0_inv
	v_cmp_eq_u64_e32 vcc_lo, v[30:31], v[24:25]
	s_or_b32 s5, vcc_lo, s5
	s_delay_alu instid0(SALU_CYCLE_1)
	s_and_not1_b32 exec_lo, exec_lo, s5
	s_cbranch_execnz .LBB1_339
; %bb.340:                              ;   in Loop: Header=BB1_280 Depth=1
	s_or_b32 exec_lo, exec_lo, s5
.LBB1_341:                              ;   in Loop: Header=BB1_280 Depth=1
	s_delay_alu instid0(SALU_CYCLE_1)
	s_or_b32 exec_lo, exec_lo, s4
.LBB1_342:                              ;   in Loop: Header=BB1_280 Depth=1
	s_delay_alu instid0(SALU_CYCLE_1)
	s_or_b32 exec_lo, exec_lo, s1
	s_clause 0x1
	global_load_b64 v[36:37], v7, s[2:3] offset:40
	global_load_b128 v[22:25], v7, s[2:3]
	v_readfirstlane_b32 s4, v30
	v_readfirstlane_b32 s5, v31
	s_mov_b32 s1, exec_lo
	s_waitcnt vmcnt(1)
	v_readfirstlane_b32 s6, v36
	v_readfirstlane_b32 s7, v37
	s_delay_alu instid0(VALU_DEP_1) | instskip(NEXT) | instid1(SALU_CYCLE_1)
	s_and_b64 s[6:7], s[4:5], s[6:7]
	s_mul_i32 s13, s7, 24
	s_mul_hi_u32 s14, s6, 24
	s_mul_i32 s15, s6, 24
	s_add_i32 s14, s14, s13
	s_waitcnt vmcnt(0)
	v_add_co_u32 v30, vcc_lo, v22, s15
	v_add_co_ci_u32_e32 v31, vcc_lo, s14, v23, vcc_lo
	s_and_saveexec_b32 s13, s0
	s_cbranch_execz .LBB1_344
; %bb.343:                              ;   in Loop: Header=BB1_280 Depth=1
	v_mov_b32_e32 v6, s1
	global_store_b128 v[30:31], v[6:9], off offset:8
.LBB1_344:                              ;   in Loop: Header=BB1_280 Depth=1
	s_or_b32 exec_lo, exec_lo, s13
	v_cmp_lt_u64_e32 vcc_lo, 56, v[26:27]
	v_or_b32_e32 v6, 0, v1
	v_or_b32_e32 v33, v0, v32
	v_lshl_add_u32 v36, v28, 2, 28
	s_lshl_b64 s[6:7], s[6:7], 12
	s_delay_alu instid0(SALU_CYCLE_1) | instskip(NEXT) | instid1(VALU_DEP_1)
	v_add_co_u32 v24, s1, v24, s6
	v_add_co_ci_u32_e64 v25, s1, s7, v25, s1
	v_dual_cndmask_b32 v1, v6, v1 :: v_dual_cndmask_b32 v0, v33, v0
	v_and_b32_e32 v6, 0x1e0, v36
	s_delay_alu instid0(VALU_DEP_4) | instskip(NEXT) | instid1(VALU_DEP_4)
	v_readfirstlane_b32 s6, v24
	v_readfirstlane_b32 s7, v25
	s_delay_alu instid0(VALU_DEP_3)
	v_and_or_b32 v0, 0xffffff1f, v0, v6
	s_clause 0x3
	global_store_b128 v34, v[0:3], s[6:7]
	global_store_b128 v34, v[10:13], s[6:7] offset:16
	global_store_b128 v34, v[14:17], s[6:7] offset:32
	;; [unrolled: 1-line block ×3, first 2 shown]
	s_and_saveexec_b32 s1, s0
	s_cbranch_execz .LBB1_352
; %bb.345:                              ;   in Loop: Header=BB1_280 Depth=1
	s_clause 0x1
	global_load_b64 v[14:15], v7, s[2:3] offset:32 glc
	global_load_b64 v[0:1], v7, s[2:3] offset:40
	v_dual_mov_b32 v12, s4 :: v_dual_mov_b32 v13, s5
	s_waitcnt vmcnt(0)
	v_readfirstlane_b32 s6, v0
	v_readfirstlane_b32 s7, v1
	s_delay_alu instid0(VALU_DEP_1) | instskip(NEXT) | instid1(SALU_CYCLE_1)
	s_and_b64 s[6:7], s[6:7], s[4:5]
	s_mul_i32 s7, s7, 24
	s_mul_hi_u32 s13, s6, 24
	s_mul_i32 s6, s6, 24
	s_add_i32 s13, s13, s7
	v_add_co_u32 v10, vcc_lo, v22, s6
	v_add_co_ci_u32_e32 v11, vcc_lo, s13, v23, vcc_lo
	s_mov_b32 s6, exec_lo
	global_store_b64 v[10:11], v[14:15], off
	s_waitcnt_vscnt null, 0x0
	global_atomic_cmpswap_b64 v[2:3], v7, v[12:15], s[2:3] offset:32 glc
	s_waitcnt vmcnt(0)
	v_cmpx_ne_u64_e64 v[2:3], v[14:15]
	s_cbranch_execz .LBB1_348
; %bb.346:                              ;   in Loop: Header=BB1_280 Depth=1
	s_mov_b32 s7, 0
.LBB1_347:                              ;   Parent Loop BB1_280 Depth=1
                                        ; =>  This Inner Loop Header: Depth=2
	v_dual_mov_b32 v0, s4 :: v_dual_mov_b32 v1, s5
	s_sleep 1
	global_store_b64 v[10:11], v[2:3], off
	s_waitcnt_vscnt null, 0x0
	global_atomic_cmpswap_b64 v[0:1], v7, v[0:3], s[2:3] offset:32 glc
	s_waitcnt vmcnt(0)
	v_cmp_eq_u64_e32 vcc_lo, v[0:1], v[2:3]
	v_dual_mov_b32 v3, v1 :: v_dual_mov_b32 v2, v0
	s_or_b32 s7, vcc_lo, s7
	s_delay_alu instid0(SALU_CYCLE_1)
	s_and_not1_b32 exec_lo, exec_lo, s7
	s_cbranch_execnz .LBB1_347
.LBB1_348:                              ;   in Loop: Header=BB1_280 Depth=1
	s_or_b32 exec_lo, exec_lo, s6
	global_load_b64 v[0:1], v7, s[2:3] offset:16
	s_mov_b32 s7, exec_lo
	s_mov_b32 s6, exec_lo
	v_mbcnt_lo_u32_b32 v2, s7, 0
	s_delay_alu instid0(VALU_DEP_1)
	v_cmpx_eq_u32_e32 0, v2
	s_cbranch_execz .LBB1_350
; %bb.349:                              ;   in Loop: Header=BB1_280 Depth=1
	s_bcnt1_i32_b32 s7, s7
	s_delay_alu instid0(SALU_CYCLE_1)
	v_mov_b32_e32 v6, s7
	s_waitcnt vmcnt(0)
	global_atomic_add_u64 v[0:1], v[6:7], off offset:8
.LBB1_350:                              ;   in Loop: Header=BB1_280 Depth=1
	s_or_b32 exec_lo, exec_lo, s6
	s_waitcnt vmcnt(0)
	global_load_b64 v[2:3], v[0:1], off offset:16
	s_waitcnt vmcnt(0)
	v_cmp_eq_u64_e32 vcc_lo, 0, v[2:3]
	s_cbranch_vccnz .LBB1_352
; %bb.351:                              ;   in Loop: Header=BB1_280 Depth=1
	global_load_b32 v6, v[0:1], off offset:24
	s_waitcnt vmcnt(0)
	v_and_b32_e32 v0, 0xffffff, v6
	s_waitcnt_vscnt null, 0x0
	global_store_b64 v[2:3], v[6:7], off
	v_readfirstlane_b32 m0, v0
	s_sendmsg sendmsg(MSG_INTERRUPT)
.LBB1_352:                              ;   in Loop: Header=BB1_280 Depth=1
	s_or_b32 exec_lo, exec_lo, s1
	v_add_co_u32 v0, vcc_lo, v24, v34
	v_add_co_ci_u32_e32 v1, vcc_lo, 0, v25, vcc_lo
	s_branch .LBB1_356
	.p2align	6
.LBB1_353:                              ;   in Loop: Header=BB1_356 Depth=2
	s_or_b32 exec_lo, exec_lo, s1
	s_delay_alu instid0(VALU_DEP_1) | instskip(NEXT) | instid1(VALU_DEP_1)
	v_readfirstlane_b32 s1, v2
	s_cmp_eq_u32 s1, 0
	s_cbranch_scc1 .LBB1_355
; %bb.354:                              ;   in Loop: Header=BB1_356 Depth=2
	s_sleep 1
	s_cbranch_execnz .LBB1_356
	s_branch .LBB1_358
	.p2align	6
.LBB1_355:                              ;   in Loop: Header=BB1_280 Depth=1
	s_branch .LBB1_358
.LBB1_356:                              ;   Parent Loop BB1_280 Depth=1
                                        ; =>  This Inner Loop Header: Depth=2
	v_mov_b32_e32 v2, 1
	s_and_saveexec_b32 s1, s0
	s_cbranch_execz .LBB1_353
; %bb.357:                              ;   in Loop: Header=BB1_356 Depth=2
	global_load_b32 v2, v[30:31], off offset:20 glc
	s_waitcnt vmcnt(0)
	buffer_gl1_inv
	buffer_gl0_inv
	v_and_b32_e32 v2, 1, v2
	s_branch .LBB1_353
.LBB1_358:                              ;   in Loop: Header=BB1_280 Depth=1
	global_load_b128 v[0:3], v[0:1], off
	s_and_saveexec_b32 s1, s0
	s_cbranch_execz .LBB1_279
; %bb.359:                              ;   in Loop: Header=BB1_280 Depth=1
	s_clause 0x2
	global_load_b64 v[2:3], v7, s[2:3] offset:40
	global_load_b64 v[14:15], v7, s[2:3] offset:24 glc
	global_load_b64 v[12:13], v7, s[2:3]
	s_waitcnt vmcnt(2)
	v_add_co_u32 v6, vcc_lo, v2, 1
	v_add_co_ci_u32_e32 v16, vcc_lo, 0, v3, vcc_lo
	s_delay_alu instid0(VALU_DEP_2) | instskip(NEXT) | instid1(VALU_DEP_2)
	v_add_co_u32 v10, vcc_lo, v6, s4
	v_add_co_ci_u32_e32 v11, vcc_lo, s5, v16, vcc_lo
	s_delay_alu instid0(VALU_DEP_1) | instskip(SKIP_1) | instid1(VALU_DEP_1)
	v_cmp_eq_u64_e32 vcc_lo, 0, v[10:11]
	v_dual_cndmask_b32 v11, v11, v16 :: v_dual_cndmask_b32 v10, v10, v6
	v_and_b32_e32 v3, v11, v3
	s_delay_alu instid0(VALU_DEP_2) | instskip(NEXT) | instid1(VALU_DEP_1)
	v_and_b32_e32 v2, v10, v2
	v_mul_hi_u32 v6, v2, 24
	v_mul_lo_u32 v2, v2, 24
	s_waitcnt vmcnt(0)
	s_delay_alu instid0(VALU_DEP_1) | instskip(SKIP_2) | instid1(VALU_DEP_1)
	v_add_co_u32 v2, vcc_lo, v12, v2
	v_mov_b32_e32 v12, v14
	v_mul_lo_u32 v3, v3, 24
	v_add_nc_u32_e32 v3, v6, v3
	s_delay_alu instid0(VALU_DEP_1)
	v_add_co_ci_u32_e32 v3, vcc_lo, v13, v3, vcc_lo
	v_mov_b32_e32 v13, v15
	global_store_b64 v[2:3], v[14:15], off
	s_waitcnt_vscnt null, 0x0
	global_atomic_cmpswap_b64 v[12:13], v7, v[10:13], s[2:3] offset:24 glc
	s_waitcnt vmcnt(0)
	v_cmp_ne_u64_e32 vcc_lo, v[12:13], v[14:15]
	s_and_b32 exec_lo, exec_lo, vcc_lo
	s_cbranch_execz .LBB1_279
; %bb.360:                              ;   in Loop: Header=BB1_280 Depth=1
	s_mov_b32 s0, 0
.LBB1_361:                              ;   Parent Loop BB1_280 Depth=1
                                        ; =>  This Inner Loop Header: Depth=2
	s_sleep 1
	global_store_b64 v[2:3], v[12:13], off
	s_waitcnt_vscnt null, 0x0
	global_atomic_cmpswap_b64 v[14:15], v7, v[10:13], s[2:3] offset:24 glc
	s_waitcnt vmcnt(0)
	v_cmp_eq_u64_e32 vcc_lo, v[14:15], v[12:13]
	v_dual_mov_b32 v12, v14 :: v_dual_mov_b32 v13, v15
	s_or_b32 s0, vcc_lo, s0
	s_delay_alu instid0(SALU_CYCLE_1)
	s_and_not1_b32 exec_lo, exec_lo, s0
	s_cbranch_execnz .LBB1_361
	s_branch .LBB1_279
.LBB1_362:
	s_or_b32 exec_lo, exec_lo, s11
                                        ; implicit-def: $vgpr34
                                        ; implicit-def: $vgpr35
.LBB1_363:
	s_and_not1_saveexec_b32 s1, s10
	s_cbranch_execz .LBB1_391
; %bb.364:
	v_readfirstlane_b32 s0, v35
	v_mov_b32_e32 v8, 0
	v_mov_b32_e32 v9, 0
	s_delay_alu instid0(VALU_DEP_3) | instskip(NEXT) | instid1(VALU_DEP_1)
	v_cmp_eq_u32_e64 s0, s0, v35
	s_and_saveexec_b32 s4, s0
	s_cbranch_execz .LBB1_370
; %bb.365:
	s_waitcnt vmcnt(0)
	v_mov_b32_e32 v2, 0
	s_mov_b32 s5, exec_lo
	global_load_b64 v[5:6], v2, s[2:3] offset:24 glc
	s_waitcnt vmcnt(0)
	buffer_gl1_inv
	buffer_gl0_inv
	s_clause 0x1
	global_load_b64 v[3:4], v2, s[2:3] offset:40
	global_load_b64 v[7:8], v2, s[2:3]
	s_waitcnt vmcnt(1)
	v_and_b32_e32 v3, v3, v5
	v_and_b32_e32 v4, v4, v6
	s_delay_alu instid0(VALU_DEP_2) | instskip(NEXT) | instid1(VALU_DEP_2)
	v_mul_hi_u32 v9, v3, 24
	v_mul_lo_u32 v4, v4, 24
	v_mul_lo_u32 v3, v3, 24
	s_delay_alu instid0(VALU_DEP_2) | instskip(SKIP_1) | instid1(VALU_DEP_2)
	v_add_nc_u32_e32 v4, v9, v4
	s_waitcnt vmcnt(0)
	v_add_co_u32 v3, vcc_lo, v7, v3
	s_delay_alu instid0(VALU_DEP_2)
	v_add_co_ci_u32_e32 v4, vcc_lo, v8, v4, vcc_lo
	global_load_b64 v[3:4], v[3:4], off glc
	s_waitcnt vmcnt(0)
	global_atomic_cmpswap_b64 v[8:9], v2, v[3:6], s[2:3] offset:24 glc
	s_waitcnt vmcnt(0)
	buffer_gl1_inv
	buffer_gl0_inv
	v_cmpx_ne_u64_e64 v[8:9], v[5:6]
	s_cbranch_execz .LBB1_369
; %bb.366:
	s_mov_b32 s6, 0
	.p2align	6
.LBB1_367:                              ; =>This Inner Loop Header: Depth=1
	s_sleep 1
	s_clause 0x1
	global_load_b64 v[3:4], v2, s[2:3] offset:40
	global_load_b64 v[10:11], v2, s[2:3]
	v_dual_mov_b32 v5, v8 :: v_dual_mov_b32 v6, v9
	s_waitcnt vmcnt(1)
	s_delay_alu instid0(VALU_DEP_1) | instskip(NEXT) | instid1(VALU_DEP_2)
	v_and_b32_e32 v3, v3, v5
	v_and_b32_e32 v4, v4, v6
	s_waitcnt vmcnt(0)
	s_delay_alu instid0(VALU_DEP_2) | instskip(NEXT) | instid1(VALU_DEP_1)
	v_mad_u64_u32 v[7:8], null, v3, 24, v[10:11]
	v_mov_b32_e32 v3, v8
	s_delay_alu instid0(VALU_DEP_1)
	v_mad_u64_u32 v[8:9], null, v4, 24, v[3:4]
	global_load_b64 v[3:4], v[7:8], off glc
	s_waitcnt vmcnt(0)
	global_atomic_cmpswap_b64 v[8:9], v2, v[3:6], s[2:3] offset:24 glc
	s_waitcnt vmcnt(0)
	buffer_gl1_inv
	buffer_gl0_inv
	v_cmp_eq_u64_e32 vcc_lo, v[8:9], v[5:6]
	s_or_b32 s6, vcc_lo, s6
	s_delay_alu instid0(SALU_CYCLE_1)
	s_and_not1_b32 exec_lo, exec_lo, s6
	s_cbranch_execnz .LBB1_367
; %bb.368:
	s_or_b32 exec_lo, exec_lo, s6
.LBB1_369:
	s_delay_alu instid0(SALU_CYCLE_1)
	s_or_b32 exec_lo, exec_lo, s5
.LBB1_370:
	s_delay_alu instid0(SALU_CYCLE_1)
	s_or_b32 exec_lo, exec_lo, s4
	s_waitcnt vmcnt(0)
	v_mov_b32_e32 v2, 0
	v_readfirstlane_b32 s4, v8
	v_readfirstlane_b32 s5, v9
	s_mov_b32 s10, exec_lo
	s_clause 0x1
	global_load_b64 v[10:11], v2, s[2:3] offset:40
	global_load_b128 v[4:7], v2, s[2:3]
	s_waitcnt vmcnt(1)
	v_readfirstlane_b32 s6, v10
	v_readfirstlane_b32 s7, v11
	s_delay_alu instid0(VALU_DEP_1) | instskip(NEXT) | instid1(SALU_CYCLE_1)
	s_and_b64 s[6:7], s[4:5], s[6:7]
	s_mul_i32 s11, s7, 24
	s_mul_hi_u32 s12, s6, 24
	s_mul_i32 s13, s6, 24
	s_add_i32 s12, s12, s11
	s_waitcnt vmcnt(0)
	v_add_co_u32 v8, vcc_lo, v4, s13
	v_add_co_ci_u32_e32 v9, vcc_lo, s12, v5, vcc_lo
	s_and_saveexec_b32 s11, s0
	s_cbranch_execz .LBB1_372
; %bb.371:
	v_dual_mov_b32 v10, s10 :: v_dual_mov_b32 v11, v2
	v_dual_mov_b32 v12, 2 :: v_dual_mov_b32 v13, 1
	global_store_b128 v[8:9], v[10:13], off offset:8
.LBB1_372:
	s_or_b32 exec_lo, exec_lo, s11
	s_lshl_b64 s[6:7], s[6:7], 12
	s_mov_b32 s12, 0
	v_add_co_u32 v6, vcc_lo, v6, s6
	v_add_co_ci_u32_e32 v7, vcc_lo, s7, v7, vcc_lo
	s_mov_b32 s13, s12
	s_delay_alu instid0(VALU_DEP_2)
	v_readfirstlane_b32 s6, v6
	v_add_co_u32 v6, vcc_lo, v6, v34
	s_mov_b32 s14, s12
	s_mov_b32 s15, s12
	v_and_or_b32 v0, 0xffffff1f, v0, 32
	v_dual_mov_b32 v3, v2 :: v_dual_mov_b32 v10, s12
	v_readfirstlane_b32 s7, v7
	v_add_co_ci_u32_e32 v7, vcc_lo, 0, v7, vcc_lo
	v_dual_mov_b32 v11, s13 :: v_dual_mov_b32 v12, s14
	v_mov_b32_e32 v13, s15
	s_clause 0x3
	global_store_b128 v34, v[0:3], s[6:7]
	global_store_b128 v34, v[10:13], s[6:7] offset:16
	global_store_b128 v34, v[10:13], s[6:7] offset:32
	;; [unrolled: 1-line block ×3, first 2 shown]
	s_and_saveexec_b32 s6, s0
	s_cbranch_execz .LBB1_380
; %bb.373:
	v_dual_mov_b32 v10, 0 :: v_dual_mov_b32 v11, s4
	v_mov_b32_e32 v12, s5
	s_clause 0x1
	global_load_b64 v[13:14], v10, s[2:3] offset:32 glc
	global_load_b64 v[0:1], v10, s[2:3] offset:40
	s_waitcnt vmcnt(0)
	v_readfirstlane_b32 s10, v0
	v_readfirstlane_b32 s11, v1
	s_delay_alu instid0(VALU_DEP_1) | instskip(NEXT) | instid1(SALU_CYCLE_1)
	s_and_b64 s[10:11], s[10:11], s[4:5]
	s_mul_i32 s7, s11, 24
	s_mul_hi_u32 s11, s10, 24
	s_mul_i32 s10, s10, 24
	s_add_i32 s11, s11, s7
	v_add_co_u32 v4, vcc_lo, v4, s10
	v_add_co_ci_u32_e32 v5, vcc_lo, s11, v5, vcc_lo
	s_mov_b32 s7, exec_lo
	global_store_b64 v[4:5], v[13:14], off
	s_waitcnt_vscnt null, 0x0
	global_atomic_cmpswap_b64 v[2:3], v10, v[11:14], s[2:3] offset:32 glc
	s_waitcnt vmcnt(0)
	v_cmpx_ne_u64_e64 v[2:3], v[13:14]
	s_cbranch_execz .LBB1_376
; %bb.374:
	s_mov_b32 s10, 0
.LBB1_375:                              ; =>This Inner Loop Header: Depth=1
	v_dual_mov_b32 v0, s4 :: v_dual_mov_b32 v1, s5
	s_sleep 1
	global_store_b64 v[4:5], v[2:3], off
	s_waitcnt_vscnt null, 0x0
	global_atomic_cmpswap_b64 v[0:1], v10, v[0:3], s[2:3] offset:32 glc
	s_waitcnt vmcnt(0)
	v_cmp_eq_u64_e32 vcc_lo, v[0:1], v[2:3]
	v_dual_mov_b32 v3, v1 :: v_dual_mov_b32 v2, v0
	s_or_b32 s10, vcc_lo, s10
	s_delay_alu instid0(SALU_CYCLE_1)
	s_and_not1_b32 exec_lo, exec_lo, s10
	s_cbranch_execnz .LBB1_375
.LBB1_376:
	s_or_b32 exec_lo, exec_lo, s7
	v_mov_b32_e32 v3, 0
	s_mov_b32 s10, exec_lo
	s_mov_b32 s7, exec_lo
	v_mbcnt_lo_u32_b32 v2, s10, 0
	global_load_b64 v[0:1], v3, s[2:3] offset:16
	v_cmpx_eq_u32_e32 0, v2
	s_cbranch_execz .LBB1_378
; %bb.377:
	s_bcnt1_i32_b32 s10, s10
	s_delay_alu instid0(SALU_CYCLE_1)
	v_mov_b32_e32 v2, s10
	s_waitcnt vmcnt(0)
	global_atomic_add_u64 v[0:1], v[2:3], off offset:8
.LBB1_378:
	s_or_b32 exec_lo, exec_lo, s7
	s_waitcnt vmcnt(0)
	global_load_b64 v[2:3], v[0:1], off offset:16
	s_waitcnt vmcnt(0)
	v_cmp_eq_u64_e32 vcc_lo, 0, v[2:3]
	s_cbranch_vccnz .LBB1_380
; %bb.379:
	global_load_b32 v0, v[0:1], off offset:24
	s_waitcnt vmcnt(0)
	v_dual_mov_b32 v1, 0 :: v_dual_and_b32 v4, 0xffffff, v0
	s_waitcnt_vscnt null, 0x0
	global_store_b64 v[2:3], v[0:1], off
	v_readfirstlane_b32 m0, v4
	s_sendmsg sendmsg(MSG_INTERRUPT)
.LBB1_380:
	s_or_b32 exec_lo, exec_lo, s6
	s_branch .LBB1_384
	.p2align	6
.LBB1_381:                              ;   in Loop: Header=BB1_384 Depth=1
	s_or_b32 exec_lo, exec_lo, s6
	s_delay_alu instid0(VALU_DEP_1) | instskip(NEXT) | instid1(VALU_DEP_1)
	v_readfirstlane_b32 s6, v0
	s_cmp_eq_u32 s6, 0
	s_cbranch_scc1 .LBB1_383
; %bb.382:                              ;   in Loop: Header=BB1_384 Depth=1
	s_sleep 1
	s_cbranch_execnz .LBB1_384
	s_branch .LBB1_386
	.p2align	6
.LBB1_383:
	s_branch .LBB1_386
.LBB1_384:                              ; =>This Inner Loop Header: Depth=1
	v_mov_b32_e32 v0, 1
	s_and_saveexec_b32 s6, s0
	s_cbranch_execz .LBB1_381
; %bb.385:                              ;   in Loop: Header=BB1_384 Depth=1
	global_load_b32 v0, v[8:9], off offset:20 glc
	s_waitcnt vmcnt(0)
	buffer_gl1_inv
	buffer_gl0_inv
	v_and_b32_e32 v0, 1, v0
	s_branch .LBB1_381
.LBB1_386:
	global_load_b64 v[0:1], v[6:7], off
	s_and_saveexec_b32 s6, s0
	s_cbranch_execz .LBB1_390
; %bb.387:
	v_mov_b32_e32 v8, 0
	s_clause 0x2
	global_load_b64 v[4:5], v8, s[2:3] offset:40
	global_load_b64 v[9:10], v8, s[2:3] offset:24 glc
	global_load_b64 v[6:7], v8, s[2:3]
	s_waitcnt vmcnt(2)
	v_add_co_u32 v11, vcc_lo, v4, 1
	v_add_co_ci_u32_e32 v12, vcc_lo, 0, v5, vcc_lo
	s_delay_alu instid0(VALU_DEP_2) | instskip(NEXT) | instid1(VALU_DEP_2)
	v_add_co_u32 v2, vcc_lo, v11, s4
	v_add_co_ci_u32_e32 v3, vcc_lo, s5, v12, vcc_lo
	s_delay_alu instid0(VALU_DEP_1) | instskip(SKIP_1) | instid1(VALU_DEP_1)
	v_cmp_eq_u64_e32 vcc_lo, 0, v[2:3]
	v_dual_cndmask_b32 v3, v3, v12 :: v_dual_cndmask_b32 v2, v2, v11
	v_and_b32_e32 v5, v3, v5
	s_delay_alu instid0(VALU_DEP_2) | instskip(NEXT) | instid1(VALU_DEP_2)
	v_and_b32_e32 v4, v2, v4
	v_mul_lo_u32 v5, v5, 24
	s_delay_alu instid0(VALU_DEP_2) | instskip(SKIP_1) | instid1(VALU_DEP_2)
	v_mul_hi_u32 v11, v4, 24
	v_mul_lo_u32 v4, v4, 24
	v_add_nc_u32_e32 v5, v11, v5
	s_waitcnt vmcnt(0)
	s_delay_alu instid0(VALU_DEP_2) | instskip(SKIP_1) | instid1(VALU_DEP_3)
	v_add_co_u32 v6, vcc_lo, v6, v4
	v_mov_b32_e32 v4, v9
	v_add_co_ci_u32_e32 v7, vcc_lo, v7, v5, vcc_lo
	v_mov_b32_e32 v5, v10
	global_store_b64 v[6:7], v[9:10], off
	s_waitcnt_vscnt null, 0x0
	global_atomic_cmpswap_b64 v[4:5], v8, v[2:5], s[2:3] offset:24 glc
	s_waitcnt vmcnt(0)
	v_cmp_ne_u64_e32 vcc_lo, v[4:5], v[9:10]
	s_and_b32 exec_lo, exec_lo, vcc_lo
	s_cbranch_execz .LBB1_390
; %bb.388:
	s_mov_b32 s0, 0
.LBB1_389:                              ; =>This Inner Loop Header: Depth=1
	s_sleep 1
	global_store_b64 v[6:7], v[4:5], off
	s_waitcnt_vscnt null, 0x0
	global_atomic_cmpswap_b64 v[9:10], v8, v[2:5], s[2:3] offset:24 glc
	s_waitcnt vmcnt(0)
	v_cmp_eq_u64_e32 vcc_lo, v[9:10], v[4:5]
	v_dual_mov_b32 v4, v9 :: v_dual_mov_b32 v5, v10
	s_or_b32 s0, vcc_lo, s0
	s_delay_alu instid0(SALU_CYCLE_1)
	s_and_not1_b32 exec_lo, exec_lo, s0
	s_cbranch_execnz .LBB1_389
.LBB1_390:
	s_or_b32 exec_lo, exec_lo, s6
.LBB1_391:
	s_delay_alu instid0(SALU_CYCLE_1)
	s_or_b32 exec_lo, exec_lo, s1
	s_getpc_b64 s[0:1]
	s_add_u32 s0, s0, .str.1@rel32@lo+4
	s_addc_u32 s1, s1, .str.1@rel32@hi+12
	s_getpc_b64 s[2:3]
	s_add_u32 s2, s2, .str.1@rel32@lo+32
	s_addc_u32 s3, s3, .str.1@rel32@hi+40
	s_sub_i32 s4, s2, s0
	s_getpc_b64 s[2:3]
	s_add_u32 s2, s2, __ockl_fprintf_append_string_n@rel32@lo+4
	s_addc_u32 s3, s3, __ockl_fprintf_append_string_n@rel32@hi+12
	s_ashr_i32 s5, s4, 31
	s_waitcnt vmcnt(0)
	v_dual_mov_b32 v2, s0 :: v_dual_mov_b32 v3, s1
	v_dual_mov_b32 v4, s4 :: v_dual_mov_b32 v5, s5
	v_mov_b32_e32 v6, 1
	s_swappc_b64 s[30:31], s[2:3]
	s_trap 2
	s_sendmsg_rtn_b32 s0, sendmsg(MSG_RTN_GET_DOORBELL)
	s_mov_b32 ttmp2, m0
	s_waitcnt lgkmcnt(0)
	s_and_b32 s0, s0, 0x3ff
	s_delay_alu instid0(SALU_CYCLE_1) | instskip(NEXT) | instid1(SALU_CYCLE_1)
	s_bitset1_b32 s0, 10
	s_mov_b32 m0, s0
	s_sendmsg sendmsg(MSG_INTERRUPT)
	s_mov_b32 m0, ttmp2
.LBB1_392:                              ; =>This Inner Loop Header: Depth=1
	s_sethalt 5
	s_branch .LBB1_392
.Lfunc_end1:
	.size	__assert_fail, .Lfunc_end1-__assert_fail
                                        ; -- End function
	.section	.AMDGPU.csdata,"",@progbits
; Function info:
; codeLenInByte = 16148
; NumSgprs: 36
; NumVgprs: 41
; ScratchSize: 64
; MemoryBound: 0
	.text
	.p2align	2                               ; -- Begin function _ZN12_GLOBAL__N_17runRingIf8FuncProdIfE11ProtoSimpleILi1ELi1ELi0ELi1ELi0ELi0EELi0ELi1ELi0EEEviiP15ncclDevWorkColl
	.type	_ZN12_GLOBAL__N_17runRingIf8FuncProdIfE11ProtoSimpleILi1ELi1ELi0ELi1ELi0ELi0EELi0ELi1ELi0EEEviiP15ncclDevWorkColl,@function
_ZN12_GLOBAL__N_17runRingIf8FuncProdIfE11ProtoSimpleILi1ELi1ELi0ELi1ELi0ELi0EELi0ELi1ELi0EEEviiP15ncclDevWorkColl: ; @_ZN12_GLOBAL__N_17runRingIf8FuncProdIfE11ProtoSimpleILi1ELi1ELi0ELi1ELi0ELi0EELi0ELi1ELi0EEEviiP15ncclDevWorkColl
; %bb.0:
	s_waitcnt vmcnt(0) expcnt(0) lgkmcnt(0)
	s_mov_b32 s0, s33
	s_mov_b32 s33, s32
	s_or_saveexec_b32 s1, -1
	scratch_store_b32 off, v41, s33 offset:4 ; 4-byte Folded Spill
	s_mov_b32 exec_lo, s1
	v_writelane_b32 v41, s0, 2
	s_add_i32 s32, s32, 16
	scratch_store_b32 off, v40, s33         ; 4-byte Folded Spill
	v_writelane_b32 v41, s30, 0
	v_writelane_b32 v41, s31, 1
	s_cbranch_execnz .LBB2_656
; %bb.1:
	ds_load_b64 v[26:27], v0
	ds_load_b32 v9, v0
	flat_load_b64 v[6:7], v[2:3]
	s_mov_b32 s0, exec_lo
                                        ; implicit-def: $vgpr29_vgpr30
                                        ; implicit-def: $vgpr24_vgpr25
	s_waitcnt lgkmcnt(2)
	v_ashrrev_i32_e32 v5, 31, v27
	v_mov_b32_e32 v4, v27
	s_delay_alu instid0(VALU_DEP_1) | instskip(NEXT) | instid1(VALU_DEP_1)
	v_lshlrev_b64 v[4:5], 2, v[4:5]
	v_add_co_u32 v4, vcc_lo, v26, v4
	s_delay_alu instid0(VALU_DEP_2) | instskip(NEXT) | instid1(VALU_DEP_2)
	v_add_co_ci_u32_e32 v5, vcc_lo, v27, v5, vcc_lo
	v_add_co_u32 v4, vcc_lo, -4, v4
	s_delay_alu instid0(VALU_DEP_2) | instskip(SKIP_4) | instid1(VALU_DEP_1)
	v_add_co_ci_u32_e32 v5, vcc_lo, -1, v5, vcc_lo
	flat_load_u16 v28, v[2:3] offset:8
	flat_load_b32 v36, v[4:5]
                                        ; implicit-def: $vgpr4_vgpr5
	s_waitcnt vmcnt(2) lgkmcnt(2)
	v_dual_mov_b32 v27, v7 :: v_dual_and_b32 v8, 0xff, v6
	v_cmpx_ne_u32_e64 v8, v9
	s_xor_b32 s0, exec_lo, s0
	s_cbranch_execnz .LBB2_658
; %bb.2:
	s_and_not1_saveexec_b32 s0, s0
	s_cbranch_execnz .LBB2_663
.LBB2_3:
	s_or_b32 exec_lo, exec_lo, s0
	s_cbranch_execnz .LBB2_664
.LBB2_4:
	ds_load_b64 v[6:7], v0
	s_mov_b32 s1, exec_lo
	s_waitcnt lgkmcnt(0)
	v_cmp_ne_u32_e32 vcc_lo, -1, v6
	v_cndmask_b32_e64 v30, 0, 1, vcc_lo
	v_cmp_ne_u32_e32 vcc_lo, -1, v7
	s_delay_alu instid0(VALU_DEP_2) | instskip(NEXT) | instid1(VALU_DEP_1)
	v_add_co_ci_u32_e64 v6, s0, 0, v30, vcc_lo
	v_lshlrev_b32_e32 v7, 1, v6
	s_delay_alu instid0(VALU_DEP_1)
	v_cmpx_le_i32_e64 v7, v1
	s_xor_b32 s13, exec_lo, s1
	s_cbranch_execz .LBB2_875
; %bb.5:
	s_clause 0x1
	flat_load_b128 v[10:13], v[2:3] offset:16
	flat_load_b64 v[32:33], v[2:3] offset:104
	s_cbranch_execnz .LBB2_666
; %bb.6:
	s_load_b32 s0, s[8:9], 0x0
	v_mov_b32_e32 v2, 0
	v_mov_b32_e32 v48, 4
	s_mov_b32 s2, exec_lo
	s_waitcnt lgkmcnt(0)
	s_cmp_lt_u32 s12, s0
	s_cselect_b32 s0, 12, 18
	s_delay_alu instid0(SALU_CYCLE_1)
	s_add_u32 s0, s8, s0
	s_addc_u32 s1, s9, 0
	global_load_u16 v37, v2, s[0:1]
	ds_load_b32 v2, v0
	s_waitcnt lgkmcnt(0)
	v_readfirstlane_b32 s1, v2
	v_cmpx_ge_i32_e64 v0, v30
	s_cbranch_execz .LBB2_16
; %bb.7:
	v_cmp_le_u32_e64 s0, v6, v0
                                        ; implicit-def: $vgpr48
	s_delay_alu instid0(VALU_DEP_1) | instskip(NEXT) | instid1(SALU_CYCLE_1)
	s_and_saveexec_b32 s3, s0
	s_xor_b32 s0, exec_lo, s3
	s_cbranch_execz .LBB2_13
; %bb.8:
	v_cndmask_b32_e64 v2, 0, 1, vcc_lo
	s_mov_b32 s3, exec_lo
                                        ; implicit-def: $sgpr4
	s_delay_alu instid0(VALU_DEP_1) | instskip(NEXT) | instid1(VALU_DEP_1)
	v_sub_nc_u32_e32 v2, v1, v2
	v_cmpx_ge_u32_e64 v0, v2
	s_xor_b32 s3, exec_lo, s3
; %bb.9:
	s_mov_b32 s4, 16
                                        ; implicit-def: $vgpr6
; %bb.10:
	s_or_saveexec_b32 s3, s3
	v_mov_b32_e32 v48, s4
	s_xor_b32 exec_lo, exec_lo, s3
; %bb.11:
	v_sub_nc_u32_e32 v2, v1, v6
	s_delay_alu instid0(VALU_DEP_1) | instskip(SKIP_1) | instid1(VALU_DEP_1)
	v_cmp_ge_i32_e32 vcc_lo, v0, v2
	v_cndmask_b32_e64 v2, 0, 1, vcc_lo
	v_lshlrev_b32_e32 v48, 5, v2
; %bb.12:
	s_or_b32 exec_lo, exec_lo, s3
.LBB2_13:
	s_and_not1_saveexec_b32 s0, s0
; %bb.14:
	v_mov_b32_e32 v48, 8
; %bb.15:
	s_or_b32 exec_lo, exec_lo, s0
.LBB2_16:
	s_delay_alu instid0(SALU_CYCLE_1) | instskip(NEXT) | instid1(VALU_DEP_1)
	s_or_b32 exec_lo, exec_lo, s2
	v_and_b32_e32 v2, 36, v48
	v_mov_b32_e32 v34, -1
	s_delay_alu instid0(VALU_DEP_2)
	v_cmp_ne_u32_e32 vcc_lo, 0, v2
	s_and_saveexec_b32 s0, vcc_lo
	s_cbranch_execz .LBB2_19
; %bb.17:
	s_cbranch_execnz .LBB2_668
; %bb.18:
	ds_load_b32 v34, v0
.LBB2_19:
	s_or_b32 exec_lo, exec_lo, s0
	v_and_b32_e32 v2, 24, v48
	s_mov_b32 s2, exec_lo
	s_delay_alu instid0(VALU_DEP_1)
	v_cmpx_ne_u32_e32 0, v2
	s_cbranch_execz .LBB2_22
; %bb.20:
	s_cbranch_execnz .LBB2_670
; %bb.21:
	s_waitcnt lgkmcnt(0)
	ds_load_b32 v34, v0
.LBB2_22:
	s_or_b32 exec_lo, exec_lo, s2
	s_waitcnt vmcnt(4)
	v_lshrrev_b64 v[2:3], 31, v[27:28]
	v_mov_b32_e32 v14, 0
	v_mov_b32_e32 v15, 0
                                        ; implicit-def: $vgpr50
                                        ; implicit-def: $vgpr20_vgpr21
                                        ; implicit-def: $vgpr18_vgpr19
                                        ; implicit-def: $vgpr16_vgpr17
	s_delay_alu instid0(VALU_DEP_3) | instskip(NEXT) | instid1(VALU_DEP_2)
	v_and_b32_e32 v28, 3, v2
	v_dual_mov_b32 v6, v14 :: v_dual_mov_b32 v7, v15
                                        ; implicit-def: $vgpr2_vgpr3
	s_and_saveexec_b32 s0, vcc_lo
	s_cbranch_execz .LBB2_35
; %bb.23:
	s_cbranch_execnz .LBB2_672
; %bb.24:
	ds_load_b64 v[2:3], v0
	s_waitcnt lgkmcnt(1)
	v_ashrrev_i32_e32 v35, 31, v34
	v_and_b32_e32 v8, 0xffff, v28
	s_delay_alu instid0(VALU_DEP_2) | instskip(SKIP_1) | instid1(VALU_DEP_1)
	v_lshlrev_b64 v[6:7], 3, v[34:35]
	s_waitcnt lgkmcnt(0)
	v_add_co_u32 v2, vcc_lo, v2, v6
	s_delay_alu instid0(VALU_DEP_2)
	v_add_co_ci_u32_e32 v3, vcc_lo, v3, v7, vcc_lo
	flat_load_b64 v[2:3], v[2:3]
	s_waitcnt vmcnt(0) lgkmcnt(0)
	v_mad_u64_u32 v[6:7], null, 0xa8, v8, v[2:3]
	flat_load_b32 v2, v[6:7] offset:640
	v_add_co_u32 v14, vcc_lo, 0x1f8, v6
	v_add_co_ci_u32_e32 v15, vcc_lo, 0, v7, vcc_lo
	s_waitcnt vmcnt(0) lgkmcnt(0)
	v_cmp_eq_u32_e32 vcc_lo, 1, v2
                                        ; implicit-def: $vgpr2_vgpr3
	s_and_saveexec_b32 s2, vcc_lo
	s_cbranch_execz .LBB2_27
; %bb.25:
	flat_load_b64 v[2:3], v[14:15] offset:144
	s_waitcnt vmcnt(0) lgkmcnt(0)
	flat_load_b64 v[6:7], v[2:3]
	s_cbranch_execnz .LBB2_678
; %bb.26:
	s_waitcnt vmcnt(0) lgkmcnt(0)
	ds_store_b64 v0, v[6:7]
	flat_load_b64 v[6:7], v[2:3] offset:8
	v_or_b32_e32 v48, 0x2000, v48
	s_waitcnt vmcnt(0) lgkmcnt(0)
	ds_store_b64 v0, v[6:7]
	flat_load_b64 v[6:7], v[2:3] offset:16
	s_waitcnt vmcnt(0) lgkmcnt(0)
	ds_store_b64 v0, v[6:7]
.LBB2_27:
	s_or_b32 exec_lo, exec_lo, s2
	flat_load_b64 v[8:9], v[14:15] offset:104
	v_and_b32_e32 v6, 32, v48
	s_mov_b32 s2, exec_lo
                                        ; implicit-def: $vgpr16_vgpr17
	s_delay_alu instid0(VALU_DEP_1)
	v_cmpx_ne_u32_e32 0, v6
	s_cbranch_execz .LBB2_29
; %bb.28:
	flat_load_b64 v[16:17], v[14:15] offset:56
	s_waitcnt vmcnt(0) lgkmcnt(0)
	s_waitcnt_vscnt null, 0x0
	flat_store_b64 v[16:17], v[8:9]
.LBB2_29:
	s_or_b32 exec_lo, exec_lo, s2
	v_and_b32_e32 v18, 4, v48
	v_mov_b32_e32 v6, 0
	v_mov_b32_e32 v7, 0
                                        ; implicit-def: $vgpr50
                                        ; implicit-def: $vgpr20_vgpr21
	s_delay_alu instid0(VALU_DEP_3)
	v_cmp_ne_u32_e32 vcc_lo, 0, v18
                                        ; implicit-def: $vgpr18_vgpr19
	s_and_saveexec_b32 s2, vcc_lo
	s_cbranch_execz .LBB2_34
; %bb.30:
	v_and_b32_e32 v6, 0x800, v48
	s_mov_b32 s3, exec_lo
	s_delay_alu instid0(VALU_DEP_1)
	v_cmpx_eq_u32_e32 0, v6
	s_cbranch_execz .LBB2_33
; %bb.31:
	s_cbranch_execnz .LBB2_682
; %bb.32:
	ds_store_b64 v0, v[14:15]
.LBB2_33:
	s_or_b32 exec_lo, exec_lo, s3
	flat_load_b64 v[16:17], v[14:15] offset:48
	v_or_b32_e32 v23, 0x100, v48
	s_waitcnt vmcnt(0) lgkmcnt(0)
	flat_load_b64 v[20:21], v[16:17] glc
	s_clause 0x2
	flat_load_b32 v22, v[14:15] offset:72
	flat_load_b64 v[6:7], v[14:15] offset:96
	flat_load_b64 v[18:19], v[14:15] offset:16
	s_waitcnt vmcnt(2) lgkmcnt(2)
	v_ashrrev_i32_e32 v50, 2, v22
	s_waitcnt vmcnt(1) lgkmcnt(1)
	v_cmp_eq_u64_e32 vcc_lo, 0, v[6:7]
	v_cndmask_b32_e32 v48, v23, v48, vcc_lo
.LBB2_34:
	s_or_b32 exec_lo, exec_lo, s2
.LBB2_35:
	s_delay_alu instid0(SALU_CYCLE_1) | instskip(NEXT) | instid1(VALU_DEP_1)
	s_or_b32 exec_lo, exec_lo, s0
	v_and_b32_e32 v22, 24, v48
	s_delay_alu instid0(VALU_DEP_1)
	v_cmp_ne_u32_e32 vcc_lo, 0, v22
                                        ; implicit-def: $vgpr22_vgpr23
	s_and_saveexec_b32 s0, vcc_lo
	s_cbranch_execz .LBB2_45
; %bb.36:
	s_cbranch_execnz .LBB2_674
; %bb.37:
	ds_load_b64 v[6:7], v0
	s_waitcnt lgkmcnt(1)
	v_ashrrev_i32_e32 v35, 31, v34
	v_or_b32_e32 v22, 0x100, v48
	s_waitcnt vmcnt(0)
	s_delay_alu instid0(VALU_DEP_2) | instskip(SKIP_1) | instid1(VALU_DEP_1)
	v_lshlrev_b64 v[8:9], 3, v[34:35]
	s_waitcnt lgkmcnt(0)
	v_add_co_u32 v6, vcc_lo, v6, v8
	s_delay_alu instid0(VALU_DEP_2)
	v_add_co_ci_u32_e32 v7, vcc_lo, v7, v9, vcc_lo
	v_and_b32_e32 v8, 0xffff, v28
	flat_load_b64 v[6:7], v[6:7]
	s_waitcnt vmcnt(0) lgkmcnt(0)
	v_mad_u64_u32 v[14:15], null, 0xa8, v8, v[6:7]
	flat_load_b128 v[6:9], v[14:15] offset:96
	s_waitcnt vmcnt(0) lgkmcnt(0)
	v_cmp_eq_u64_e32 vcc_lo, 0, v[6:7]
	v_cndmask_b32_e32 v48, v22, v48, vcc_lo
	s_delay_alu instid0(VALU_DEP_1) | instskip(NEXT) | instid1(VALU_DEP_1)
	v_and_b32_e32 v22, 16, v48
	v_cmp_ne_u32_e32 vcc_lo, 0, v22
                                        ; implicit-def: $vgpr22_vgpr23
	s_and_saveexec_b32 s2, vcc_lo
; %bb.38:
	s_clause 0x2
	flat_load_b64 v[22:23], v[14:15] offset:120
	flat_load_b64 v[16:17], v[14:15] offset:48
	;; [unrolled: 1-line block ×3, first 2 shown]
; %bb.39:
	s_or_b32 exec_lo, exec_lo, s2
	v_and_b32_e32 v28, 8, v48
	s_mov_b32 s2, exec_lo
	s_delay_alu instid0(VALU_DEP_1)
	v_cmpx_ne_u32_e32 0, v28
	s_cbranch_execz .LBB2_44
; %bb.40:
	s_waitcnt vmcnt(1) lgkmcnt(1)
	v_and_b32_e32 v16, 0x800, v48
	s_mov_b32 s3, exec_lo
	s_delay_alu instid0(VALU_DEP_1)
	v_cmpx_eq_u32_e32 0, v16
	s_cbranch_execz .LBB2_43
; %bb.41:
	s_cbranch_execnz .LBB2_699
; %bb.42:
	ds_store_b64 v0, v[14:15]
.LBB2_43:
	s_or_b32 exec_lo, exec_lo, s3
	flat_load_b64 v[16:17], v[14:15] offset:56
	s_waitcnt vmcnt(0) lgkmcnt(0)
	flat_load_b64 v[20:21], v[16:17] glc
	s_clause 0x1
	flat_load_b32 v28, v[14:15] offset:72
	flat_load_b64 v[18:19], v[14:15] offset:16
	s_waitcnt vmcnt(1) lgkmcnt(1)
	v_ashrrev_i32_e32 v50, 2, v28
.LBB2_44:
	s_or_b32 exec_lo, exec_lo, s2
.LBB2_45:
	s_delay_alu instid0(SALU_CYCLE_1) | instskip(SKIP_1) | instid1(VALU_DEP_1)
	s_or_b32 exec_lo, exec_lo, s0
	v_cmp_eq_u32_e64 s0, 0, v0
	s_and_saveexec_b32 s2, s0
	s_cbranch_execz .LBB2_48
; %bb.46:
	s_waitcnt vmcnt(2)
	ds_store_2addr_b64 v0, v[12:13], v[10:11] offset1:1
	s_cbranch_execnz .LBB2_676
; %bb.47:
	v_mov_b32_e32 v10, 0
	s_delay_alu instid0(VALU_DEP_1)
	v_mov_b32_e32 v11, v10
	ds_store_b64 v0, v[10:11]
	s_waitcnt vmcnt(1)
	ds_store_b64 v0, v[32:33]
.LBB2_48:
	s_or_b32 exec_lo, exec_lo, s2
	s_ashr_i32 s2, s1, 31
	s_waitcnt vmcnt(2)
	v_dual_mov_b32 v13, 0 :: v_dual_and_b32 v12, 0xfffff80, v29
	s_lshr_b32 s2, s2, 29
	v_bfe_u32 v27, v27, 1, 30
	s_waitcnt vmcnt(0)
	v_and_b32_e32 v49, 0xffff, v37
	s_add_i32 s1, s1, s2
                                        ; implicit-def: $vgpr10_vgpr11
	s_delay_alu instid0(SALU_CYCLE_1)
	s_ashr_i32 s14, s1, 5
	s_mov_b32 s1, exec_lo
	v_cmpx_ne_u32_e64 v36, v27
	s_xor_b32 s15, exec_lo, s1
	s_cbranch_execz .LBB2_450
; %bb.49:
	v_cmp_ne_u64_e64 s1, 0, v[4:5]
                                        ; implicit-def: $vgpr10_vgpr11
	s_mov_b32 s2, exec_lo
	v_cmpx_ne_u32_e64 v26, v27
	s_xor_b32 s16, exec_lo, s2
	s_cbranch_execz .LBB2_256
; %bb.50:
	v_mov_b32_e32 v10, 0
	v_mov_b32_e32 v11, 0
	s_and_saveexec_b32 s17, s1
	s_cbranch_execz .LBB2_255
; %bb.51:
	v_cmp_ge_i32_e64 s2, v0, v1
	s_cbranch_execnz .LBB2_697
; %bb.52:
	v_ashrrev_i32_e32 v10, 31, v0
	v_lshrrev_b32_e32 v39, 5, v1
	v_dual_mov_b32 v26, 0 :: v_dual_and_b32 v11, 31, v31
	s_lshr_b32 s5, s14, 27
	s_delay_alu instid0(VALU_DEP_3) | instskip(NEXT) | instid1(VALU_DEP_3)
	v_lshrrev_b32_e32 v10, 27, v10
	v_dual_mov_b32 v71, 1 :: v_dual_lshlrev_b32 v52, 9, v39
	s_add_i32 s11, s14, s5
	v_cmp_eq_u32_e64 s5, 0, v11
	s_delay_alu instid0(VALU_DEP_3) | instskip(NEXT) | instid1(VALU_DEP_3)
	v_add_nc_u32_e32 v10, v0, v10
	v_add_nc_u32_e32 v11, 0xfffffe00, v52
	v_lshlrev_b32_e32 v51, 4, v0
	v_cmp_eq_u32_e32 vcc_lo, 32, v1
	v_ashrrev_i32_e32 v38, 31, v50
	v_and_b32_e32 v27, 0xffffffe0, v10
	v_ashrrev_i32_e32 v28, 31, v11
	v_ashrrev_i32_e32 v10, 5, v10
	v_add_co_u32 v65, s10, 0x200, v11
	s_delay_alu instid0(VALU_DEP_4) | instskip(SKIP_3) | instid1(VALU_DEP_4)
	v_sub_nc_u32_e32 v54, v0, v27
	v_lshl_add_u32 v27, v39, 8, 0xffffff00
	v_add_co_ci_u32_e64 v66, s10, 0, v28, s10
	v_sub_nc_u32_e32 v64, 0, v10
	v_cmp_le_i32_e64 s6, v54, v30
	s_delay_alu instid0(VALU_DEP_4) | instskip(SKIP_3) | instid1(VALU_DEP_4)
	v_ashrrev_i32_e32 v10, 31, v27
	v_add_co_u32 v67, s10, 0x100, v27
	v_mov_b32_e32 v27, 0
	v_dual_mov_b32 v28, 0 :: v_dual_lshlrev_b32 v55, 7, v39
	v_add_co_ci_u32_e64 v68, s10, 0, v10, s10
	v_cmp_lt_i32_e64 s7, v54, v30
	v_lshlrev_b64 v[29:30], 2, v[24:25]
	s_delay_alu instid0(VALU_DEP_4)
	v_add_nc_u32_e32 v11, 0xffffff80, v55
	v_cmp_ne_u32_e64 s3, 32, v1
	v_cmp_ne_u32_e64 s4, v49, v1
	v_ashrrev_i32_e32 v53, 31, v51
	s_ashr_i32 s19, s11, 5
	v_ashrrev_i32_e32 v10, 31, v11
	v_add_co_u32 v69, s10, 0x80, v11
	s_mov_b32 s18, 0
	s_xor_b32 s20, vcc_lo, -1
	s_delay_alu instid0(VALU_DEP_2)
	v_add_co_ci_u32_e64 v70, s10, 0, v10, s10
	v_mov_b32_e32 v10, v27
	s_waitcnt lgkmcnt(2)
	v_cmp_eq_u64_e64 s10, 0, v[22:23]
	v_mov_b32_e32 v11, v28
.LBB2_53:                               ; =>This Loop Header: Depth=1
                                        ;     Child Loop BB2_63 Depth 2
                                        ;     Child Loop BB2_95 Depth 2
                                        ;     Child Loop BB2_118 Depth 2
                                        ;     Child Loop BB2_142 Depth 2
                                        ;     Child Loop BB2_148 Depth 2
                                        ;     Child Loop BB2_156 Depth 2
                                        ;     Child Loop BB2_162 Depth 2
                                        ;     Child Loop BB2_173 Depth 2
                                        ;     Child Loop BB2_200 Depth 2
                                        ;     Child Loop BB2_232 Depth 2
	v_sub_co_u32 v24, vcc_lo, v4, v27
	v_sub_co_ci_u32_e32 v25, vcc_lo, v5, v28, vcc_lo
	s_delay_alu instid0(VALU_DEP_1) | instskip(SKIP_2) | instid1(VALU_DEP_1)
	v_cmp_lt_u64_e32 vcc_lo, v[12:13], v[24:25]
	v_cndmask_b32_e64 v25, v25, 0, vcc_lo
	v_cndmask_b32_e32 v24, v24, v12, vcc_lo
	v_cmp_eq_u64_e32 vcc_lo, 0, v[24:25]
	v_dual_mov_b32 v25, 0 :: v_dual_add_nc_u32 v32, 15, v24
	s_or_b32 s21, s2, vcc_lo
	s_delay_alu instid0(VALU_DEP_1) | instskip(SKIP_1) | instid1(VALU_DEP_1)
	v_and_b32_e32 v32, 0x1ffffff0, v32
	s_xor_b32 s11, s21, -1
	v_max_i32_e32 v80, s19, v32
	s_and_saveexec_b32 s22, s11
	s_cbranch_execz .LBB2_193
; %bb.54:                               ;   in Loop: Header=BB2_53 Depth=1
	s_and_saveexec_b32 s11, s0
	s_cbranch_execz .LBB2_57
; %bb.55:                               ;   in Loop: Header=BB2_53 Depth=1
	s_cbranch_execnz .LBB2_725
; %bb.56:                               ;   in Loop: Header=BB2_53 Depth=1
	ds_load_b64 v[32:33], v0
	s_waitcnt lgkmcnt(1)
	v_lshlrev_b64 v[34:35], 2, v[27:28]
	s_waitcnt lgkmcnt(0)
	v_add_co_u32 v25, vcc_lo, v32, v29
	v_add_co_ci_u32_e32 v33, vcc_lo, v33, v30, vcc_lo
	s_delay_alu instid0(VALU_DEP_2) | instskip(NEXT) | instid1(VALU_DEP_2)
	v_add_co_u32 v32, vcc_lo, v25, v34
	v_add_co_ci_u32_e32 v33, vcc_lo, v33, v35, vcc_lo
	v_mov_b32_e32 v25, v26
	ds_store_b64 v0, v[32:33]
	ds_store_b64 v0, v[25:26]
.LBB2_57:                               ;   in Loop: Header=BB2_53 Depth=1
	s_or_b32 exec_lo, exec_lo, s11
	v_and_b32_e32 v25, 12, v48
	s_mov_b32 s12, -1
	s_mov_b32 s11, exec_lo
	s_delay_alu instid0(VALU_DEP_1)
	v_cmpx_ne_u32_e32 0, v25
	s_cbranch_execz .LBB2_71
; %bb.58:                               ;   in Loop: Header=BB2_53 Depth=1
	v_and_b32_e32 v25, 8, v48
	s_waitcnt lgkmcnt(0)
	s_delay_alu instid0(VALU_DEP_1) | instskip(SKIP_3) | instid1(VALU_DEP_1)
	v_add_co_u32 v34, vcc_lo, v20, v25
	v_add_co_ci_u32_e32 v35, vcc_lo, 0, v21, vcc_lo
	v_add_co_u32 v32, vcc_lo, v8, 1
	v_add_co_ci_u32_e32 v33, vcc_lo, 0, v9, vcc_lo
	v_cmp_lt_u64_e32 vcc_lo, v[34:35], v[32:33]
	v_mov_b32_e32 v34, 1
	s_and_saveexec_b32 s12, vcc_lo
	s_cbranch_execz .LBB2_70
; %bb.59:                               ;   in Loop: Header=BB2_53 Depth=1
	v_mov_b32_e32 v34, 0
	s_mov_b32 s23, 0
                                        ; implicit-def: $sgpr24
	s_branch .LBB2_63
.LBB2_60:                               ;   in Loop: Header=BB2_63 Depth=2
	s_or_b32 exec_lo, exec_lo, s28
	v_mov_b32_e32 v35, 0
	s_or_not1_b32 s27, s27, exec_lo
.LBB2_61:                               ;   in Loop: Header=BB2_63 Depth=2
	s_or_b32 exec_lo, exec_lo, s26
	s_delay_alu instid0(VALU_DEP_1) | instskip(SKIP_2) | instid1(SALU_CYCLE_1)
	v_mov_b32_e32 v34, v35
	s_and_not1_b32 s24, s24, exec_lo
	s_and_b32 s26, s27, exec_lo
	s_or_b32 s24, s24, s26
.LBB2_62:                               ;   in Loop: Header=BB2_63 Depth=2
	s_or_b32 exec_lo, exec_lo, s25
	s_waitcnt vmcnt(0) lgkmcnt(0)
	v_add_co_u32 v35, vcc_lo, v20, v25
	v_add_co_ci_u32_e32 v36, vcc_lo, 0, v21, vcc_lo
	s_xor_b32 s25, s24, -1
	s_delay_alu instid0(VALU_DEP_1) | instskip(SKIP_1) | instid1(SALU_CYCLE_1)
	v_cmp_ge_u64_e32 vcc_lo, v[35:36], v[32:33]
	s_or_b32 s25, s25, vcc_lo
	s_and_b32 s25, exec_lo, s25
	s_delay_alu instid0(SALU_CYCLE_1) | instskip(NEXT) | instid1(SALU_CYCLE_1)
	s_or_b32 s23, s25, s23
	s_and_not1_b32 exec_lo, exec_lo, s23
	s_cbranch_execz .LBB2_69
.LBB2_63:                               ;   Parent Loop BB2_53 Depth=1
                                        ; =>  This Inner Loop Header: Depth=2
	s_sleep 1
	flat_load_b64 v[20:21], v[16:17] glc
	v_and_b32_e32 v35, 64, v48
	s_and_not1_b32 s24, s24, exec_lo
	s_mov_b32 s25, exec_lo
	s_delay_alu instid0(VALU_DEP_1)
	v_cmpx_eq_u32_e32 0, v35
	s_cbranch_execz .LBB2_62
; %bb.64:                               ;   in Loop: Header=BB2_63 Depth=2
	v_add_nc_u32_e32 v35, 1, v34
	s_mov_b32 s27, -1
	s_mov_b32 s26, exec_lo
	v_cmpx_lt_i32_e32 0x270e, v34
	s_cbranch_execz .LBB2_61
; %bb.65:                               ;   in Loop: Header=BB2_63 Depth=2
	s_cbranch_execnz .LBB2_747
; %bb.66:                               ;   in Loop: Header=BB2_63 Depth=2
	ds_load_b64 v[34:35], v0
	s_mov_b32 s28, exec_lo
	s_waitcnt vmcnt(0) lgkmcnt(0)
	s_waitcnt_vscnt null, 0x0
	flat_load_b32 v34, v[34:35] glc
	s_waitcnt vmcnt(0) lgkmcnt(0)
	buffer_gl1_inv
	buffer_gl0_inv
	v_cmpx_ne_u32_e32 0, v34
	s_cbranch_execz .LBB2_60
; %bb.67:                               ;   in Loop: Header=BB2_63 Depth=2
	ds_store_b32 v0, v34
	s_cbranch_execnz .LBB2_780
; %bb.68:                               ;   in Loop: Header=BB2_63 Depth=2
	v_or_b32_e32 v48, 64, v48
	s_xor_b32 s27, exec_lo, -1
	s_branch .LBB2_60
.LBB2_69:                               ;   in Loop: Header=BB2_53 Depth=1
	s_or_b32 exec_lo, exec_lo, s23
	v_and_b32_e32 v34, 12, v48
.LBB2_70:                               ;   in Loop: Header=BB2_53 Depth=1
	s_or_b32 exec_lo, exec_lo, s12
	s_delay_alu instid0(VALU_DEP_1)
	v_cmp_eq_u32_e32 vcc_lo, 0, v34
	;;#ASMSTART
	s_wakeup
	;;#ASMEND
	s_or_not1_b32 s12, vcc_lo, exec_lo
.LBB2_71:                               ;   in Loop: Header=BB2_53 Depth=1
	s_or_b32 exec_lo, exec_lo, s11
	v_min_u32_e32 v80, v80, v24
	s_xor_b32 s11, s12, -1
	s_delay_alu instid0(SALU_CYCLE_1)
	s_and_saveexec_b32 s12, s11
	s_cbranch_execz .LBB2_86
; %bb.72:                               ;   in Loop: Header=BB2_53 Depth=1
	v_and_b32_e32 v25, 0x108, v48
	s_mov_b32 s11, exec_lo
	s_delay_alu instid0(VALU_DEP_1)
	v_cmpx_ne_u32_e32 0x108, v25
	s_xor_b32 s11, exec_lo, s11
                                        ; implicit-def: $vgpr32_vgpr33
	s_cbranch_execz .LBB2_74
; %bb.73:                               ;   in Loop: Header=BB2_53 Depth=1
	s_waitcnt lgkmcnt(0)
	v_and_b32_e32 v32, 7, v8
.LBB2_74:                               ;   in Loop: Header=BB2_53 Depth=1
	s_and_not1_saveexec_b32 s11, s11
	s_cbranch_execz .LBB2_76
; %bb.75:                               ;   in Loop: Header=BB2_53 Depth=1
	s_waitcnt lgkmcnt(0)
	v_and_b32_e32 v32, 7, v8
	v_dual_mov_b32 v36, v26 :: v_dual_lshlrev_b32 v35, 2, v80
	s_delay_alu instid0(VALU_DEP_2)
	v_mad_u64_u32 v[33:34], null, v32, 24, v[6:7]
	flat_store_b64 v[33:34], v[35:36] offset:8
.LBB2_76:                               ;   in Loop: Header=BB2_53 Depth=1
	s_or_b32 exec_lo, exec_lo, s11
	v_and_b32_e32 v25, 0x100, v48
	s_mov_b32 s11, -1
	s_mov_b32 s23, exec_lo
                                        ; implicit-def: $vgpr33_vgpr34
	s_delay_alu instid0(VALU_DEP_1)
	v_cmpx_ne_u32_e32 0, v25
	s_cbranch_execnz .LBB2_79
; %bb.77:                               ;   in Loop: Header=BB2_53 Depth=1
	s_or_b32 exec_lo, exec_lo, s23
	s_and_saveexec_b32 s23, s11
	s_cbranch_execnz .LBB2_82
.LBB2_78:                               ;   in Loop: Header=BB2_53 Depth=1
	s_or_b32 exec_lo, exec_lo, s23
	s_cbranch_execnz .LBB2_741
	s_branch .LBB2_83
.LBB2_79:                               ;   in Loop: Header=BB2_53 Depth=1
	v_mad_u64_u32 v[35:36], null, v32, 24, v[6:7]
	s_mov_b32 s24, exec_lo
	s_delay_alu instid0(VALU_DEP_1) | instskip(SKIP_1) | instid1(VALU_DEP_1)
	v_mov_b32_e32 v25, v36
	s_waitcnt lgkmcnt(0)
	v_mad_u64_u32 v[33:34], null, v26, 24, v[25:26]
	s_delay_alu instid0(VALU_DEP_1)
	v_mov_b32_e32 v36, v33
                                        ; implicit-def: $vgpr33_vgpr34
	flat_load_b32 v25, v[35:36]
	s_waitcnt vmcnt(0) lgkmcnt(0)
	v_cmp_ne_u32_e32 vcc_lo, 1, v25
	v_cmpx_eq_u32_e32 1, v25
	s_cbranch_execz .LBB2_81
; %bb.80:                               ;   in Loop: Header=BB2_53 Depth=1
	flat_load_b32 v33, v[35:36] offset:4 glc
	s_waitcnt vmcnt(0) lgkmcnt(0)
	v_ashrrev_i32_e32 v34, 31, v33
	s_delay_alu instid0(VALU_DEP_1)
	v_lshrrev_b64 v[33:34], 2, v[33:34]
.LBB2_81:                               ;   in Loop: Header=BB2_53 Depth=1
	s_or_b32 exec_lo, exec_lo, s24
	s_delay_alu instid0(SALU_CYCLE_1)
	s_or_not1_b32 s11, vcc_lo, exec_lo
	s_or_b32 exec_lo, exec_lo, s23
	s_and_saveexec_b32 s23, s11
	s_cbranch_execz .LBB2_78
.LBB2_82:                               ;   in Loop: Header=BB2_53 Depth=1
	v_mul_lo_u32 v25, v26, v50
	v_mul_lo_u32 v35, v32, v38
	s_waitcnt lgkmcnt(0)
	v_mad_u64_u32 v[33:34], null, v32, v50, 0
	s_delay_alu instid0(VALU_DEP_1)
	v_add3_u32 v34, v34, v35, v25
	s_or_b32 exec_lo, exec_lo, s23
	s_cbranch_execnz .LBB2_741
.LBB2_83:                               ;   in Loop: Header=BB2_53 Depth=1
	s_waitcnt lgkmcnt(0)
	s_delay_alu instid0(VALU_DEP_1) | instskip(SKIP_2) | instid1(VALU_DEP_2)
	v_lshlrev_b64 v[32:33], 2, v[33:34]
	v_and_b32_e32 v25, 0x2000, v48
	s_mov_b32 s11, exec_lo
	v_add_co_u32 v32, vcc_lo, v18, v32
	s_delay_alu instid0(VALU_DEP_3)
	v_add_co_ci_u32_e32 v33, vcc_lo, v19, v33, vcc_lo
	ds_store_b64 v0, v[32:33]
	v_cmpx_ne_u32_e32 0, v25
	s_cbranch_execz .LBB2_85
; %bb.84:                               ;   in Loop: Header=BB2_53 Depth=1
	ds_load_b64 v[32:33], v0 offset:584
	s_waitcnt lgkmcnt(0)
	v_add_co_u32 v32, vcc_lo, v32, 1
	v_add_co_ci_u32_e32 v33, vcc_lo, 0, v33, vcc_lo
	ds_store_b64 v0, v[32:33] offset:584
.LBB2_85:                               ;   in Loop: Header=BB2_53 Depth=1
	s_or_b32 exec_lo, exec_lo, s11
	v_add_co_u32 v8, vcc_lo, v8, 1
	v_add_co_ci_u32_e32 v9, vcc_lo, 0, v9, vcc_lo
.LBB2_86:                               ;   in Loop: Header=BB2_53 Depth=1
	s_or_b32 exec_lo, exec_lo, s12
	s_and_saveexec_b32 s11, s3
	s_cbranch_execz .LBB2_108
; %bb.87:                               ;   in Loop: Header=BB2_53 Depth=1
	s_and_saveexec_b32 s12, s4
	s_delay_alu instid0(SALU_CYCLE_1)
	s_xor_b32 s12, exec_lo, s12
	s_cbranch_execz .LBB2_105
; %bb.88:                               ;   in Loop: Header=BB2_53 Depth=1
	s_and_saveexec_b32 s23, s5
	s_cbranch_execz .LBB2_104
; %bb.89:                               ;   in Loop: Header=BB2_53 Depth=1
	s_mov_b32 s25, exec_lo
	s_mov_b32 s24, exec_lo
	v_mbcnt_lo_u32_b32 v25, s25, 0
	s_waitcnt lgkmcnt(0)
	s_waitcnt_vscnt null, 0x0
	buffer_gl1_inv
	buffer_gl0_inv
	v_cmpx_eq_u32_e32 0, v25
	s_cbranch_execz .LBB2_91
; %bb.90:                               ;   in Loop: Header=BB2_53 Depth=1
	s_bcnt1_i32_b32 s25, s25
	s_delay_alu instid0(SALU_CYCLE_1)
	v_mov_b32_e32 v25, s25
	ds_add_u64 v0, v[25:26]
	s_cbranch_execnz .LBB2_806
.LBB2_91:                               ;   in Loop: Header=BB2_53 Depth=1
	s_or_b32 exec_lo, exec_lo, s24
	s_cbranch_execnz .LBB2_794
; %bb.92:                               ;   in Loop: Header=BB2_53 Depth=1
	ds_load_b64 v[32:33], v0
	v_add_co_u32 v10, vcc_lo, v10, v39
	v_add_co_ci_u32_e32 v11, vcc_lo, 0, v11, vcc_lo
	s_mov_b32 s24, exec_lo
	s_waitcnt lgkmcnt(0)
	s_delay_alu instid0(VALU_DEP_1)
	v_cmpx_lt_u64_e64 v[32:33], v[10:11]
	s_cbranch_execz .LBB2_103
; %bb.93:                               ;   in Loop: Header=BB2_53 Depth=1
	s_mov_b32 s25, 0
	s_mov_b32 s28, 0
                                        ; implicit-def: $sgpr26
                                        ; implicit-def: $sgpr27
	s_branch .LBB2_95
.LBB2_94:                               ;   in Loop: Header=BB2_95 Depth=2
	s_or_b32 exec_lo, exec_lo, vcc_hi
	s_delay_alu instid0(SALU_CYCLE_1) | instskip(NEXT) | instid1(SALU_CYCLE_1)
	s_and_b32 s29, exec_lo, vcc_lo
	s_or_b32 s25, s29, s25
	s_and_not1_b32 s26, s26, exec_lo
	s_and_b32 s29, s27, exec_lo
	s_delay_alu instid0(SALU_CYCLE_1)
	s_or_b32 s26, s26, s29
	s_and_not1_b32 exec_lo, exec_lo, s25
	s_cbranch_execz .LBB2_101
.LBB2_95:                               ;   Parent Loop BB2_53 Depth=1
                                        ; =>  This Inner Loop Header: Depth=2
	s_add_i32 s28, s28, 1
                                        ; implicit-def: $vcc_hi
	s_delay_alu instid0(SALU_CYCLE_1) | instskip(SKIP_1) | instid1(SALU_CYCLE_1)
	s_cmpk_lg_i32 s28, 0x2710
	s_cselect_b32 s29, -1, 0
	s_and_b32 vcc_lo, exec_lo, s29
	s_cbranch_vccz .LBB2_99
.LBB2_96:                               ;   in Loop: Header=BB2_95 Depth=2
	s_and_not1_b32 s27, s27, exec_lo
	s_and_b32 vcc_hi, vcc_hi, exec_lo
	s_mov_b32 vcc_lo, -1
	s_or_b32 s27, s27, vcc_hi
	s_and_saveexec_b32 vcc_hi, s29
	s_cbranch_execz .LBB2_94
; %bb.97:                               ;   in Loop: Header=BB2_95 Depth=2
	s_sleep 1
	s_cbranch_execnz .LBB2_838
; %bb.98:                               ;   in Loop: Header=BB2_95 Depth=2
	ds_load_b64 v[32:33], v0
	s_and_not1_b32 s27, s27, exec_lo
	s_waitcnt lgkmcnt(0)
	v_cmp_ge_u64_e32 vcc_lo, v[32:33], v[10:11]
	s_or_not1_b32 vcc_lo, vcc_lo, exec_lo
	s_branch .LBB2_94
.LBB2_99:                               ;   in Loop: Header=BB2_95 Depth=2
	s_cbranch_execnz .LBB2_852
; %bb.100:                              ;   in Loop: Header=BB2_95 Depth=2
	ds_load_b64 v[32:33], v0
	s_and_not1_b32 s29, s29, exec_lo
	s_mov_b32 s28, 0
	s_waitcnt lgkmcnt(0)
	flat_load_b32 v25, v[32:33] glc
	s_waitcnt vmcnt(0) lgkmcnt(0)
	buffer_gl1_inv
	buffer_gl0_inv
	v_cmp_eq_u32_e32 vcc_lo, 0, v25
	s_mov_b32 vcc_hi, -1
	s_and_b32 vcc_lo, vcc_lo, exec_lo
	s_delay_alu instid0(SALU_CYCLE_1)
	s_or_b32 s29, s29, vcc_lo
	s_branch .LBB2_96
.LBB2_101:                              ;   in Loop: Header=BB2_53 Depth=1
	s_or_b32 exec_lo, exec_lo, s25
	s_and_saveexec_b32 s25, s26
	s_delay_alu instid0(SALU_CYCLE_1)
	s_xor_b32 s25, exec_lo, s25
	s_cbranch_execz .LBB2_103
; %bb.102:                              ;   in Loop: Header=BB2_53 Depth=1
	ds_store_b32 v0, v71
	s_cbranch_execnz .LBB2_924
.LBB2_103:                              ;   in Loop: Header=BB2_53 Depth=1
	s_or_b32 exec_lo, exec_lo, s24
	;;#ASMSTART
	s_wakeup
	;;#ASMEND
.LBB2_104:                              ;   in Loop: Header=BB2_53 Depth=1
	s_or_b32 exec_lo, exec_lo, s23
.LBB2_105:                              ;   in Loop: Header=BB2_53 Depth=1
	s_and_not1_saveexec_b32 s12, s12
	s_cbranch_execz .LBB2_107
; %bb.106:                              ;   in Loop: Header=BB2_53 Depth=1
	s_waitcnt lgkmcnt(0)
	s_waitcnt_vscnt null, 0x0
	buffer_gl1_inv
	buffer_gl0_inv
	s_barrier
.LBB2_107:                              ;   in Loop: Header=BB2_53 Depth=1
	s_or_b32 exec_lo, exec_lo, s12
.LBB2_108:                              ;   in Loop: Header=BB2_53 Depth=1
	s_delay_alu instid0(SALU_CYCLE_1)
	s_or_b32 exec_lo, exec_lo, s11
	s_cbranch_execnz .LBB2_731
; %bb.109:                              ;   in Loop: Header=BB2_53 Depth=1
	ds_load_b32 v32, v0
	v_and_b32_e32 v25, 0x4000, v48
	s_delay_alu instid0(VALU_DEP_1) | instskip(SKIP_1) | instid1(SALU_CYCLE_1)
	v_cmp_ne_u32_e32 vcc_lo, 0, v25
	s_and_b32 s12, s20, vcc_lo
	s_and_saveexec_b32 s11, s12
	s_cbranch_execz .LBB2_131
; %bb.110:                              ;   in Loop: Header=BB2_53 Depth=1
	s_and_saveexec_b32 s12, s4
	s_delay_alu instid0(SALU_CYCLE_1)
	s_xor_b32 s12, exec_lo, s12
	s_cbranch_execz .LBB2_128
; %bb.111:                              ;   in Loop: Header=BB2_53 Depth=1
	s_and_saveexec_b32 s23, s5
	s_cbranch_execz .LBB2_127
; %bb.112:                              ;   in Loop: Header=BB2_53 Depth=1
	s_mov_b32 s25, exec_lo
	s_mov_b32 s24, exec_lo
	v_mbcnt_lo_u32_b32 v25, s25, 0
	s_waitcnt lgkmcnt(0)
	s_waitcnt_vscnt null, 0x0
	buffer_gl1_inv
	buffer_gl0_inv
	v_cmpx_eq_u32_e32 0, v25
	s_cbranch_execz .LBB2_114
; %bb.113:                              ;   in Loop: Header=BB2_53 Depth=1
	s_bcnt1_i32_b32 s25, s25
	s_delay_alu instid0(SALU_CYCLE_1)
	v_mov_b32_e32 v25, s25
	ds_add_u64 v0, v[25:26]
	s_cbranch_execnz .LBB2_834
.LBB2_114:                              ;   in Loop: Header=BB2_53 Depth=1
	s_or_b32 exec_lo, exec_lo, s24
	s_cbranch_execnz .LBB2_822
; %bb.115:                              ;   in Loop: Header=BB2_53 Depth=1
	ds_load_b64 v[33:34], v0
	v_add_co_u32 v10, vcc_lo, v10, v39
	v_add_co_ci_u32_e32 v11, vcc_lo, 0, v11, vcc_lo
	s_mov_b32 s24, exec_lo
	s_waitcnt lgkmcnt(0)
	s_delay_alu instid0(VALU_DEP_1)
	v_cmpx_lt_u64_e64 v[33:34], v[10:11]
	s_cbranch_execz .LBB2_126
; %bb.116:                              ;   in Loop: Header=BB2_53 Depth=1
	s_mov_b32 s25, 0
	s_mov_b32 s28, 0
                                        ; implicit-def: $sgpr26
                                        ; implicit-def: $sgpr27
	s_branch .LBB2_118
.LBB2_117:                              ;   in Loop: Header=BB2_118 Depth=2
	s_or_b32 exec_lo, exec_lo, vcc_hi
	s_delay_alu instid0(SALU_CYCLE_1) | instskip(NEXT) | instid1(SALU_CYCLE_1)
	s_and_b32 s29, exec_lo, vcc_lo
	s_or_b32 s25, s29, s25
	s_and_not1_b32 s26, s26, exec_lo
	s_and_b32 s29, s27, exec_lo
	s_delay_alu instid0(SALU_CYCLE_1)
	s_or_b32 s26, s26, s29
	s_and_not1_b32 exec_lo, exec_lo, s25
	s_cbranch_execz .LBB2_124
.LBB2_118:                              ;   Parent Loop BB2_53 Depth=1
                                        ; =>  This Inner Loop Header: Depth=2
	s_add_i32 s28, s28, 1
                                        ; implicit-def: $vcc_hi
	s_delay_alu instid0(SALU_CYCLE_1) | instskip(SKIP_1) | instid1(SALU_CYCLE_1)
	s_cmpk_lg_i32 s28, 0x2710
	s_cselect_b32 s29, -1, 0
	s_and_b32 vcc_lo, exec_lo, s29
	s_cbranch_vccz .LBB2_122
.LBB2_119:                              ;   in Loop: Header=BB2_118 Depth=2
	s_and_not1_b32 s27, s27, exec_lo
	s_and_b32 vcc_hi, vcc_hi, exec_lo
	s_mov_b32 vcc_lo, -1
	s_or_b32 s27, s27, vcc_hi
	s_and_saveexec_b32 vcc_hi, s29
	s_cbranch_execz .LBB2_117
; %bb.120:                              ;   in Loop: Header=BB2_118 Depth=2
	s_sleep 1
	s_cbranch_execnz .LBB2_888
; %bb.121:                              ;   in Loop: Header=BB2_118 Depth=2
	ds_load_b64 v[33:34], v0
	s_and_not1_b32 s27, s27, exec_lo
	s_waitcnt lgkmcnt(0)
	v_cmp_ge_u64_e32 vcc_lo, v[33:34], v[10:11]
	s_or_not1_b32 vcc_lo, vcc_lo, exec_lo
	s_branch .LBB2_117
.LBB2_122:                              ;   in Loop: Header=BB2_118 Depth=2
	s_cbranch_execnz .LBB2_896
; %bb.123:                              ;   in Loop: Header=BB2_118 Depth=2
	ds_load_b64 v[33:34], v0
	s_and_not1_b32 s29, s29, exec_lo
	s_mov_b32 s28, 0
	s_waitcnt lgkmcnt(0)
	flat_load_b32 v25, v[33:34] glc
	s_waitcnt vmcnt(0) lgkmcnt(0)
	buffer_gl1_inv
	buffer_gl0_inv
	v_cmp_eq_u32_e32 vcc_lo, 0, v25
	s_mov_b32 vcc_hi, -1
	s_and_b32 vcc_lo, vcc_lo, exec_lo
	s_delay_alu instid0(SALU_CYCLE_1)
	s_or_b32 s29, s29, vcc_lo
	s_branch .LBB2_119
.LBB2_124:                              ;   in Loop: Header=BB2_53 Depth=1
	s_or_b32 exec_lo, exec_lo, s25
	s_and_saveexec_b32 s25, s26
	s_delay_alu instid0(SALU_CYCLE_1)
	s_xor_b32 s25, exec_lo, s25
	s_cbranch_execz .LBB2_126
; %bb.125:                              ;   in Loop: Header=BB2_53 Depth=1
	ds_store_b32 v0, v71
	s_cbranch_execnz .LBB2_934
.LBB2_126:                              ;   in Loop: Header=BB2_53 Depth=1
	s_or_b32 exec_lo, exec_lo, s24
	;;#ASMSTART
	s_wakeup
	;;#ASMEND
.LBB2_127:                              ;   in Loop: Header=BB2_53 Depth=1
	s_or_b32 exec_lo, exec_lo, s23
.LBB2_128:                              ;   in Loop: Header=BB2_53 Depth=1
	s_and_not1_saveexec_b32 s12, s12
	s_cbranch_execz .LBB2_130
; %bb.129:                              ;   in Loop: Header=BB2_53 Depth=1
	s_waitcnt lgkmcnt(0)
	s_waitcnt_vscnt null, 0x0
	buffer_gl1_inv
	buffer_gl0_inv
	s_barrier
.LBB2_130:                              ;   in Loop: Header=BB2_53 Depth=1
	s_or_b32 exec_lo, exec_lo, s12
.LBB2_131:                              ;   in Loop: Header=BB2_53 Depth=1
	s_delay_alu instid0(SALU_CYCLE_1)
	s_or_b32 exec_lo, exec_lo, s11
	s_cbranch_execnz .LBB2_766
; %bb.132:                              ;   in Loop: Header=BB2_53 Depth=1
	s_waitcnt lgkmcnt(1)
	ds_load_b64 v[33:34], v0
	s_waitcnt lgkmcnt(0)
	v_cmp_eq_u64_e32 vcc_lo, 0, v[33:34]
	s_or_b32 s11, vcc_lo, vcc_lo
	s_delay_alu instid0(SALU_CYCLE_1)
	s_and_b32 vcc_lo, exec_lo, s11
	s_mov_b32 s11, 0
	s_cbranch_vccnz .LBB2_164
; %bb.133:                              ;   in Loop: Header=BB2_53 Depth=1
	s_mov_b32 s11, -1
	s_and_saveexec_b32 s12, s6
	s_cbranch_execz .LBB2_135
; %bb.134:                              ;   in Loop: Header=BB2_53 Depth=1
	ds_load_b32 v25, v0 offset:720
	s_waitcnt lgkmcnt(0)
	v_and_b32_e32 v25, 15, v25
	s_delay_alu instid0(VALU_DEP_1)
	v_cmp_eq_u32_e32 vcc_lo, 0, v25
	s_or_not1_b32 s11, vcc_lo, exec_lo
.LBB2_135:                              ;   in Loop: Header=BB2_53 Depth=1
	s_or_b32 exec_lo, exec_lo, s12
	s_and_saveexec_b32 s12, s7
	s_cbranch_execz .LBB2_137
; %bb.136:                              ;   in Loop: Header=BB2_53 Depth=1
	ds_load_b32 v25, v0 offset:784
	s_waitcnt lgkmcnt(0)
	v_and_b32_e32 v25, 15, v25
	s_delay_alu instid0(VALU_DEP_1) | instskip(SKIP_3) | instid1(SALU_CYCLE_1)
	v_cmp_eq_u32_e32 vcc_lo, 0, v25
	s_and_b32 s23, s11, vcc_lo
	s_and_not1_b32 s11, s11, exec_lo
	s_and_b32 s23, s23, exec_lo
	s_or_b32 s11, s11, s23
.LBB2_137:                              ;   in Loop: Header=BB2_53 Depth=1
	s_or_b32 exec_lo, exec_lo, s12
	v_cmp_eq_u32_e32 vcc_lo, 0, v32
	s_xor_b32 s11, s11, -1
	s_mov_b32 s24, -1
	v_cndmask_b32_e64 v33, 0, 1, s11
	;;#ASMSTART
	;;#ASMEND
	v_dual_cndmask_b32 v25, 0, v80 :: v_dual_mov_b32 v82, 0
	s_delay_alu instid0(VALU_DEP_2) | instskip(NEXT) | instid1(VALU_DEP_2)
	v_cmp_ne_u32_e32 vcc_lo, 0, v33
	v_lshlrev_b32_e32 v81, 2, v25
	s_cbranch_vccz .LBB2_139
; %bb.138:                              ;   in Loop: Header=BB2_53 Depth=1
	v_mov_b32_e32 v83, v0
	s_branch .LBB2_152
.LBB2_139:                              ;   in Loop: Header=BB2_53 Depth=1
	v_lshrrev_b32_e32 v32, 7, v25
	s_delay_alu instid0(VALU_DEP_2) | instskip(SKIP_1) | instid1(VALU_DEP_2)
	v_sub_nc_u32_e32 v82, v81, v51
	s_mov_b32 s23, exec_lo
	v_lshlrev_b32_e32 v84, 9, v32
	s_delay_alu instid0(VALU_DEP_1) | instskip(NEXT) | instid1(VALU_DEP_1)
	v_sub_nc_u32_e32 v86, v81, v84
	v_cmp_lt_i32_e32 vcc_lo, 15, v86
	v_add_co_ci_u32_e64 v87, s11, v32, v64, vcc_lo
	v_cmpx_lt_i32_e32 15, v82
	s_cbranch_execz .LBB2_144
; %bb.140:                              ;   in Loop: Header=BB2_53 Depth=1
	s_cbranch_execnz .LBB2_856
; %bb.141:                              ;   in Loop: Header=BB2_53 Depth=1
	ds_load_b128 v[32:35], v0
	ds_load_b64 v[36:37], v0
	s_mov_b32 s24, 0
	s_waitcnt lgkmcnt(1)
	v_add_co_u32 v32, s11, v32, v51
	s_delay_alu instid0(VALU_DEP_1) | instskip(SKIP_1) | instid1(VALU_DEP_1)
	v_add_co_ci_u32_e64 v33, s11, v33, v53, s11
	v_add_co_u32 v34, s11, v34, v51
	v_add_co_ci_u32_e64 v35, s11, v35, v53, s11
	s_waitcnt lgkmcnt(0)
	v_add_co_u32 v36, s11, v36, v51
	s_delay_alu instid0(VALU_DEP_1)
	v_add_co_ci_u32_e64 v37, s11, v37, v53, s11
.LBB2_142:                              ;   Parent Loop BB2_53 Depth=1
                                        ; =>  This Inner Loop Header: Depth=2
	global_load_b128 v[96:99], v[32:33], off slc dlc
	global_load_b128 v[100:103], v[34:35], off slc dlc
	v_add_co_u32 v32, s11, v32, v65
	v_sub_nc_u32_e32 v82, v82, v52
	v_add_co_ci_u32_e64 v33, s11, v33, v66, s11
	v_add_co_u32 v34, s11, v34, v65
	s_delay_alu instid0(VALU_DEP_1) | instskip(NEXT) | instid1(VALU_DEP_4)
	v_add_co_ci_u32_e64 v35, s11, v35, v66, s11
	v_cmp_gt_i32_e64 s11, 16, v82
	v_sub_nc_u32_e32 v87, v87, v39
	s_delay_alu instid0(VALU_DEP_2)
	s_or_b32 s24, s11, s24
	s_waitcnt vmcnt(0)
	v_dual_mul_f32 v96, v96, v100 :: v_dual_mul_f32 v97, v97, v101
	v_dual_mul_f32 v98, v98, v102 :: v_dual_mul_f32 v99, v99, v103
	global_store_b128 v[36:37], v[96:99], off glc slc dlc
	v_add_co_u32 v36, s12, v36, v65
	s_delay_alu instid0(VALU_DEP_1)
	v_add_co_ci_u32_e64 v37, s12, v37, v66, s12
	s_and_not1_b32 exec_lo, exec_lo, s24
	s_cbranch_execnz .LBB2_142
; %bb.143:                              ;   in Loop: Header=BB2_53 Depth=1
	s_or_b32 exec_lo, exec_lo, s24
.LBB2_144:                              ;   in Loop: Header=BB2_53 Depth=1
	s_delay_alu instid0(SALU_CYCLE_1) | instskip(SKIP_3) | instid1(VALU_DEP_1)
	s_or_b32 exec_lo, exec_lo, s23
	v_and_b32_e32 v32, 12, v81
	s_mov_b32 s24, 0
	s_mov_b32 s23, exec_lo
                                        ; implicit-def: $vgpr81
                                        ; implicit-def: $vgpr83
	v_dual_mov_b32 v82, 0 :: v_dual_cndmask_b32 v85, v86, v32
	s_delay_alu instid0(VALU_DEP_1)
	v_cmpx_ne_u32_e32 0, v85
	s_cbranch_execz .LBB2_151
; %bb.145:                              ;   in Loop: Header=BB2_53 Depth=1
	v_cmp_lt_i32_e64 s11, 0, v87
	v_ashrrev_i32_e32 v35, 31, v85
	s_mov_b32 s24, exec_lo
	s_delay_alu instid0(VALU_DEP_2) | instskip(NEXT) | instid1(VALU_DEP_2)
	v_cndmask_b32_e64 v33, 0, v39, s11
	v_lshrrev_b32_e32 v35, 23, v35
	s_delay_alu instid0(VALU_DEP_2) | instskip(NEXT) | instid1(VALU_DEP_1)
	v_sub_nc_u32_e32 v33, v33, v87
	v_lshl_add_u32 v33, v33, 5, v54
	s_delay_alu instid0(VALU_DEP_1) | instskip(NEXT) | instid1(VALU_DEP_1)
	v_ashrrev_i32_e32 v34, 31, v33
	v_lshrrev_b32_e32 v34, 27, v34
	s_delay_alu instid0(VALU_DEP_1) | instskip(NEXT) | instid1(VALU_DEP_1)
	v_add_nc_u32_e32 v34, v33, v34
	v_and_b32_e32 v36, 0xffffffe0, v34
	s_delay_alu instid0(VALU_DEP_1) | instskip(SKIP_3) | instid1(VALU_DEP_4)
	v_sub_nc_u32_e32 v83, v33, v36
	v_ashrrev_i32_e32 v33, 5, v34
	v_sub_nc_u32_e32 v36, v86, v32
	v_add_nc_u32_e32 v35, v85, v35
	v_lshlrev_b32_e32 v34, 4, v83
	s_delay_alu instid0(VALU_DEP_1) | instskip(NEXT) | instid1(VALU_DEP_4)
	v_lshl_add_u32 v32, v33, 9, v34
	v_cndmask_b32_e32 v34, 0, v36, vcc_lo
	s_delay_alu instid0(VALU_DEP_4) | instskip(SKIP_1) | instid1(VALU_DEP_4)
	v_and_b32_e32 v82, 0xfffffe00, v35
	v_ashrrev_i32_e32 v35, 9, v35
	v_sub_nc_u32_e32 v87, v85, v32
	s_delay_alu instid0(VALU_DEP_4) | instskip(NEXT) | instid1(VALU_DEP_4)
	v_add_nc_u32_e32 v84, v34, v84
	v_sub_nc_u32_e32 v81, v85, v82
	s_delay_alu instid0(VALU_DEP_1) | instskip(SKIP_1) | instid1(VALU_DEP_1)
	v_cmp_lt_i32_e32 vcc_lo, 15, v81
	v_add_co_ci_u32_e64 v35, s11, 0, v35, vcc_lo
	v_sub_nc_u32_e32 v86, v35, v33
	v_cmpx_lt_i32_e32 15, v87
	s_cbranch_execz .LBB2_150
; %bb.146:                              ;   in Loop: Header=BB2_53 Depth=1
	s_cbranch_execnz .LBB2_906
; %bb.147:                              ;   in Loop: Header=BB2_53 Depth=1
	ds_load_b128 v[33:36], v0
	ds_load_b64 v[96:97], v0
	v_add_nc_u32_e32 v37, v32, v84
	s_mov_b32 s25, 0
	s_delay_alu instid0(VALU_DEP_1) | instskip(SKIP_2) | instid1(VALU_DEP_1)
	v_ashrrev_i32_e32 v98, 31, v37
	s_waitcnt lgkmcnt(1)
	v_add_co_u32 v32, s11, v33, v37
	v_add_co_ci_u32_e64 v33, s11, v34, v98, s11
	v_add_co_u32 v34, s11, v35, v37
	s_delay_alu instid0(VALU_DEP_1) | instskip(SKIP_2) | instid1(VALU_DEP_1)
	v_add_co_ci_u32_e64 v35, s11, v36, v98, s11
	s_waitcnt lgkmcnt(0)
	v_add_co_u32 v36, s11, v96, v37
	v_add_co_ci_u32_e64 v37, s11, v97, v98, s11
.LBB2_148:                              ;   Parent Loop BB2_53 Depth=1
                                        ; =>  This Inner Loop Header: Depth=2
	global_load_b128 v[96:99], v[32:33], off slc dlc
	global_load_b128 v[100:103], v[34:35], off slc dlc
	v_add_co_u32 v32, s11, v32, v65
	v_sub_nc_u32_e32 v87, v87, v52
	v_add_co_ci_u32_e64 v33, s11, v33, v66, s11
	v_add_co_u32 v34, s11, v34, v65
	s_delay_alu instid0(VALU_DEP_1) | instskip(NEXT) | instid1(VALU_DEP_4)
	v_add_co_ci_u32_e64 v35, s11, v35, v66, s11
	v_cmp_gt_i32_e64 s11, 16, v87
	v_sub_nc_u32_e32 v86, v86, v39
	s_delay_alu instid0(VALU_DEP_2)
	s_or_b32 s25, s11, s25
	s_waitcnt vmcnt(0)
	v_dual_mul_f32 v96, v96, v100 :: v_dual_mul_f32 v97, v97, v101
	v_dual_mul_f32 v98, v98, v102 :: v_dual_mul_f32 v99, v99, v103
	global_store_b128 v[36:37], v[96:99], off glc slc dlc
	v_add_co_u32 v36, s12, v36, v65
	s_delay_alu instid0(VALU_DEP_1)
	v_add_co_ci_u32_e64 v37, s12, v37, v66, s12
	s_and_not1_b32 exec_lo, exec_lo, s25
	s_cbranch_execnz .LBB2_148
; %bb.149:                              ;   in Loop: Header=BB2_53 Depth=1
	s_or_b32 exec_lo, exec_lo, s25
.LBB2_150:                              ;   in Loop: Header=BB2_53 Depth=1
	s_delay_alu instid0(SALU_CYCLE_1) | instskip(SKIP_2) | instid1(VALU_DEP_2)
	s_or_b32 exec_lo, exec_lo, s24
	v_and_b32_e32 v32, 12, v85
	v_cmp_lt_i32_e64 s11, 0, v86
	v_sub_nc_u32_e32 v33, v81, v32
	s_delay_alu instid0(VALU_DEP_2) | instskip(NEXT) | instid1(VALU_DEP_2)
	v_cndmask_b32_e64 v34, 0, v39, s11
	v_dual_cndmask_b32 v81, v81, v32 :: v_dual_cndmask_b32 v32, 0, v33
	s_delay_alu instid0(VALU_DEP_2) | instskip(NEXT) | instid1(VALU_DEP_2)
	v_sub_nc_u32_e32 v33, v34, v86
	v_cmp_ne_u32_e32 vcc_lo, 0, v81
	s_delay_alu instid0(VALU_DEP_3) | instskip(NEXT) | instid1(VALU_DEP_3)
	v_add3_u32 v82, v82, v84, v32
	v_lshl_add_u32 v83, v33, 5, v83
	s_and_b32 s24, vcc_lo, exec_lo
.LBB2_151:                              ;   in Loop: Header=BB2_53 Depth=1
	s_or_b32 exec_lo, exec_lo, s23
.LBB2_152:                              ;   in Loop: Header=BB2_53 Depth=1
	s_and_saveexec_b32 s12, s24
	s_cbranch_execz .LBB2_163
; %bb.153:                              ;   in Loop: Header=BB2_53 Depth=1
	s_delay_alu instid0(VALU_DEP_1) | instskip(SKIP_2) | instid1(VALU_DEP_2)
	v_ashrrev_i32_e32 v32, 31, v83
	v_ashrrev_i32_e32 v33, 31, v81
	s_mov_b32 s23, exec_lo
	v_lshrrev_b32_e32 v32, 27, v32
	s_delay_alu instid0(VALU_DEP_2) | instskip(NEXT) | instid1(VALU_DEP_2)
	v_lshrrev_b32_e32 v33, 24, v33
	v_add_nc_u32_e32 v32, v83, v32
	s_delay_alu instid0(VALU_DEP_2) | instskip(NEXT) | instid1(VALU_DEP_2)
	v_add_nc_u32_e32 v33, v81, v33
	v_ashrrev_i32_e32 v84, 5, v32
	s_delay_alu instid0(VALU_DEP_2) | instskip(NEXT) | instid1(VALU_DEP_1)
	v_ashrrev_i32_e32 v86, 8, v33
	v_sub_nc_u32_e32 v85, v86, v84
	s_delay_alu instid0(VALU_DEP_1)
	v_cmpx_lt_i32_e32 0, v85
	s_cbranch_execz .LBB2_158
; %bb.154:                              ;   in Loop: Header=BB2_53 Depth=1
	s_cbranch_execnz .LBB2_846
; %bb.155:                              ;   in Loop: Header=BB2_53 Depth=1
	v_and_b32_e32 v36, 0x3fffffe0, v32
	ds_load_b128 v[32:35], v0
	v_lshlrev_b32_e32 v87, 8, v84
	s_mov_b32 s24, 0
	v_sub_nc_u32_e32 v36, v83, v36
	s_delay_alu instid0(VALU_DEP_1) | instskip(SKIP_2) | instid1(VALU_DEP_1)
	v_lshlrev_b32_e32 v96, 2, v36
	ds_load_b64 v[36:37], v0
	v_add3_u32 v87, v96, v82, v87
	v_ashrrev_i32_e32 v96, 31, v87
	s_waitcnt lgkmcnt(1)
	v_add_co_u32 v32, vcc_lo, v32, v87
	s_delay_alu instid0(VALU_DEP_2)
	v_add_co_ci_u32_e32 v33, vcc_lo, v33, v96, vcc_lo
	v_add_co_u32 v34, vcc_lo, v34, v87
	v_add_co_ci_u32_e32 v35, vcc_lo, v35, v96, vcc_lo
	s_waitcnt lgkmcnt(0)
	v_add_co_u32 v36, vcc_lo, v36, v87
	v_add_co_ci_u32_e32 v37, vcc_lo, v37, v96, vcc_lo
.LBB2_156:                              ;   Parent Loop BB2_53 Depth=1
                                        ; =>  This Inner Loop Header: Depth=2
	s_clause 0x1
	flat_load_b32 v87, v[32:33] slc dlc
	flat_load_b32 v96, v[32:33] offset:128 slc dlc
	s_clause 0x1
	flat_load_b32 v97, v[34:35] slc dlc
	flat_load_b32 v98, v[34:35] offset:128 slc dlc
	v_add_co_u32 v32, vcc_lo, v32, v67
	v_sub_nc_u32_e32 v85, v85, v39
	v_add_co_ci_u32_e32 v33, vcc_lo, v33, v68, vcc_lo
	v_add_co_u32 v34, vcc_lo, v34, v67
	v_add_co_ci_u32_e32 v35, vcc_lo, v35, v68, vcc_lo
	s_delay_alu instid0(VALU_DEP_4)
	v_cmp_gt_i32_e32 vcc_lo, 1, v85
	s_or_b32 s24, vcc_lo, s24
	s_waitcnt vmcnt(0) lgkmcnt(0)
	v_dual_mul_f32 v87, v87, v97 :: v_dual_mul_f32 v96, v96, v98
	s_clause 0x1
	flat_store_b32 v[36:37], v87 glc slc dlc
	flat_store_b32 v[36:37], v96 offset:128 glc slc dlc
	v_add_co_u32 v36, s11, v36, v67
	s_delay_alu instid0(VALU_DEP_1)
	v_add_co_ci_u32_e64 v37, s11, v37, v68, s11
	s_and_not1_b32 exec_lo, exec_lo, s24
	s_cbranch_execnz .LBB2_156
; %bb.157:                              ;   in Loop: Header=BB2_53 Depth=1
	s_or_b32 exec_lo, exec_lo, s24
.LBB2_158:                              ;   in Loop: Header=BB2_53 Depth=1
	s_delay_alu instid0(SALU_CYCLE_1) | instskip(SKIP_1) | instid1(VALU_DEP_1)
	s_or_b32 exec_lo, exec_lo, s23
	v_lshlrev_b32_e32 v32, 8, v86
	v_cmp_ne_u32_e32 vcc_lo, v81, v32
	s_and_b32 exec_lo, exec_lo, vcc_lo
	s_cbranch_execz .LBB2_163
; %bb.159:                              ;   in Loop: Header=BB2_53 Depth=1
	v_lshlrev_b32_e32 v33, 5, v84
	v_lshlrev_b32_e32 v34, 5, v85
	s_delay_alu instid0(VALU_DEP_2) | instskip(NEXT) | instid1(VALU_DEP_1)
	v_sub_nc_u32_e32 v33, v83, v33
	v_sub_nc_u32_e32 v33, v33, v34
	s_delay_alu instid0(VALU_DEP_1) | instskip(NEXT) | instid1(VALU_DEP_1)
	v_ashrrev_i32_e32 v34, 31, v33
	v_lshrrev_b32_e32 v34, 27, v34
	s_delay_alu instid0(VALU_DEP_1) | instskip(NEXT) | instid1(VALU_DEP_1)
	v_add_nc_u32_e32 v34, v33, v34
	v_and_b32_e32 v35, 0x3fffffe0, v34
	v_lshlrev_b32_e32 v34, 2, v34
	s_delay_alu instid0(VALU_DEP_2) | instskip(NEXT) | instid1(VALU_DEP_2)
	v_sub_nc_u32_e32 v33, v33, v35
	v_and_b32_e32 v34, 0xffffff80, v34
	s_delay_alu instid0(VALU_DEP_2) | instskip(NEXT) | instid1(VALU_DEP_1)
	v_lshlrev_b32_e32 v33, 2, v33
	v_add3_u32 v32, v34, v33, v32
	s_delay_alu instid0(VALU_DEP_1) | instskip(NEXT) | instid1(VALU_DEP_1)
	v_sub_nc_u32_e32 v81, v81, v32
	v_cmp_lt_i32_e32 vcc_lo, 3, v81
	s_and_b32 exec_lo, exec_lo, vcc_lo
	s_cbranch_execz .LBB2_163
; %bb.160:                              ;   in Loop: Header=BB2_53 Depth=1
	s_cbranch_execnz .LBB2_900
; %bb.161:                              ;   in Loop: Header=BB2_53 Depth=1
	ds_load_b128 v[33:36], v0
	ds_load_b64 v[83:84], v0
	v_add_nc_u32_e32 v37, v32, v82
	s_mov_b32 s23, 0
	s_delay_alu instid0(VALU_DEP_1) | instskip(SKIP_2) | instid1(VALU_DEP_2)
	v_ashrrev_i32_e32 v82, 31, v37
	s_waitcnt lgkmcnt(1)
	v_add_co_u32 v32, vcc_lo, v33, v37
	v_add_co_ci_u32_e32 v33, vcc_lo, v34, v82, vcc_lo
	v_add_co_u32 v34, vcc_lo, v35, v37
	v_add_co_ci_u32_e32 v35, vcc_lo, v36, v82, vcc_lo
	s_waitcnt lgkmcnt(0)
	v_add_co_u32 v36, vcc_lo, v83, v37
	v_add_co_ci_u32_e32 v37, vcc_lo, v84, v82, vcc_lo
.LBB2_162:                              ;   Parent Loop BB2_53 Depth=1
                                        ; =>  This Inner Loop Header: Depth=2
	flat_load_b32 v82, v[32:33] slc dlc
	flat_load_b32 v83, v[34:35] slc dlc
	v_add_co_u32 v32, vcc_lo, v32, v69
	v_sub_nc_u32_e32 v81, v81, v55
	v_add_co_ci_u32_e32 v33, vcc_lo, v33, v70, vcc_lo
	v_add_co_u32 v34, vcc_lo, v34, v69
	v_add_co_ci_u32_e32 v35, vcc_lo, v35, v70, vcc_lo
	s_delay_alu instid0(VALU_DEP_4)
	v_cmp_gt_i32_e32 vcc_lo, 4, v81
	s_or_b32 s23, vcc_lo, s23
	s_waitcnt vmcnt(0) lgkmcnt(0)
	v_mul_f32_e32 v82, v82, v83
	flat_store_b32 v[36:37], v82 glc slc dlc
	v_add_co_u32 v36, s11, v36, v69
	s_delay_alu instid0(VALU_DEP_1)
	v_add_co_ci_u32_e64 v37, s11, v37, v70, s11
	s_and_not1_b32 exec_lo, exec_lo, s23
	s_cbranch_execnz .LBB2_162
.LBB2_163:                              ;   in Loop: Header=BB2_53 Depth=1
	s_or_b32 exec_lo, exec_lo, s12
	v_cmp_ne_u32_e64 s11, 0, v25
.LBB2_164:                              ;   in Loop: Header=BB2_53 Depth=1
	s_and_saveexec_b32 s12, s3
	s_cbranch_execz .LBB2_186
; %bb.165:                              ;   in Loop: Header=BB2_53 Depth=1
	s_and_saveexec_b32 s23, s4
	s_delay_alu instid0(SALU_CYCLE_1)
	s_xor_b32 s23, exec_lo, s23
	s_cbranch_execz .LBB2_183
; %bb.166:                              ;   in Loop: Header=BB2_53 Depth=1
	s_and_saveexec_b32 s24, s5
	s_cbranch_execz .LBB2_182
; %bb.167:                              ;   in Loop: Header=BB2_53 Depth=1
	s_mov_b32 s26, exec_lo
	s_mov_b32 s25, exec_lo
	v_mbcnt_lo_u32_b32 v25, s26, 0
	s_waitcnt lgkmcnt(0)
	s_waitcnt_vscnt null, 0x0
	buffer_gl1_inv
	buffer_gl0_inv
	v_cmpx_eq_u32_e32 0, v25
	s_cbranch_execz .LBB2_169
; %bb.168:                              ;   in Loop: Header=BB2_53 Depth=1
	s_bcnt1_i32_b32 s26, s26
	s_delay_alu instid0(SALU_CYCLE_1)
	v_mov_b32_e32 v25, s26
	ds_add_u64 v0, v[25:26]
	s_cbranch_execnz .LBB2_890
.LBB2_169:                              ;   in Loop: Header=BB2_53 Depth=1
	s_or_b32 exec_lo, exec_lo, s25
	s_cbranch_execnz .LBB2_866
; %bb.170:                              ;   in Loop: Header=BB2_53 Depth=1
	ds_load_b64 v[32:33], v0
	v_add_co_u32 v10, vcc_lo, v10, v39
	v_add_co_ci_u32_e32 v11, vcc_lo, 0, v11, vcc_lo
	s_mov_b32 s25, exec_lo
	s_waitcnt lgkmcnt(0)
	s_delay_alu instid0(VALU_DEP_1)
	v_cmpx_lt_u64_e64 v[32:33], v[10:11]
	s_cbranch_execz .LBB2_181
; %bb.171:                              ;   in Loop: Header=BB2_53 Depth=1
	s_mov_b32 s26, 0
	s_mov_b32 s29, 0
                                        ; implicit-def: $sgpr27
                                        ; implicit-def: $sgpr28
	s_branch .LBB2_173
.LBB2_172:                              ;   in Loop: Header=BB2_173 Depth=2
	s_or_b32 exec_lo, exec_lo, s30
	s_delay_alu instid0(SALU_CYCLE_1) | instskip(NEXT) | instid1(SALU_CYCLE_1)
	s_and_b32 vcc_lo, exec_lo, vcc_lo
	s_or_b32 s26, vcc_lo, s26
	s_and_not1_b32 s27, s27, exec_lo
	s_and_b32 vcc_lo, s28, exec_lo
	s_delay_alu instid0(SALU_CYCLE_1)
	s_or_b32 s27, s27, vcc_lo
	s_and_not1_b32 exec_lo, exec_lo, s26
	s_cbranch_execz .LBB2_179
.LBB2_173:                              ;   Parent Loop BB2_53 Depth=1
                                        ; =>  This Inner Loop Header: Depth=2
	s_add_i32 s29, s29, 1
                                        ; implicit-def: $sgpr30
	s_delay_alu instid0(SALU_CYCLE_1) | instskip(SKIP_1) | instid1(SALU_CYCLE_1)
	s_cmpk_lg_i32 s29, 0x2710
	s_cselect_b32 vcc_hi, -1, 0
	s_and_b32 vcc_lo, exec_lo, vcc_hi
	s_cbranch_vccz .LBB2_177
.LBB2_174:                              ;   in Loop: Header=BB2_173 Depth=2
	s_and_not1_b32 s28, s28, exec_lo
	s_and_b32 s30, s30, exec_lo
	s_mov_b32 vcc_lo, -1
	s_or_b32 s28, s28, s30
	s_and_saveexec_b32 s30, vcc_hi
	s_cbranch_execz .LBB2_172
; %bb.175:                              ;   in Loop: Header=BB2_173 Depth=2
	s_sleep 1
	s_cbranch_execnz .LBB2_910
; %bb.176:                              ;   in Loop: Header=BB2_173 Depth=2
	ds_load_b64 v[32:33], v0
	s_and_not1_b32 s28, s28, exec_lo
	s_waitcnt lgkmcnt(0)
	v_cmp_ge_u64_e32 vcc_lo, v[32:33], v[10:11]
	s_or_not1_b32 vcc_lo, vcc_lo, exec_lo
	s_branch .LBB2_172
.LBB2_177:                              ;   in Loop: Header=BB2_173 Depth=2
	s_cbranch_execnz .LBB2_916
; %bb.178:                              ;   in Loop: Header=BB2_173 Depth=2
	ds_load_b64 v[32:33], v0
	s_mov_b32 s29, 0
	s_mov_b32 s30, -1
	s_waitcnt lgkmcnt(0)
	flat_load_b32 v25, v[32:33] glc
	s_waitcnt vmcnt(0) lgkmcnt(0)
	buffer_gl1_inv
	buffer_gl0_inv
	v_cmp_eq_u32_e32 vcc_lo, 0, v25
	s_and_not1_b32 vcc_hi, vcc_hi, exec_lo
	s_and_b32 vcc_lo, vcc_lo, exec_lo
	s_delay_alu instid0(SALU_CYCLE_1)
	s_or_b32 vcc_hi, vcc_hi, vcc_lo
	s_branch .LBB2_174
.LBB2_179:                              ;   in Loop: Header=BB2_53 Depth=1
	s_or_b32 exec_lo, exec_lo, s26
	s_and_saveexec_b32 s26, s27
	s_delay_alu instid0(SALU_CYCLE_1)
	s_xor_b32 s26, exec_lo, s26
	s_cbranch_execz .LBB2_181
; %bb.180:                              ;   in Loop: Header=BB2_53 Depth=1
	ds_store_b32 v0, v71
	s_cbranch_execnz .LBB2_940
.LBB2_181:                              ;   in Loop: Header=BB2_53 Depth=1
	s_or_b32 exec_lo, exec_lo, s25
	;;#ASMSTART
	s_wakeup
	;;#ASMEND
.LBB2_182:                              ;   in Loop: Header=BB2_53 Depth=1
	s_or_b32 exec_lo, exec_lo, s24
.LBB2_183:                              ;   in Loop: Header=BB2_53 Depth=1
	s_and_not1_saveexec_b32 s23, s23
	s_cbranch_execz .LBB2_185
; %bb.184:                              ;   in Loop: Header=BB2_53 Depth=1
	s_waitcnt lgkmcnt(0)
	s_waitcnt_vscnt null, 0x0
	buffer_gl1_inv
	buffer_gl0_inv
	s_barrier
.LBB2_185:                              ;   in Loop: Header=BB2_53 Depth=1
	s_or_b32 exec_lo, exec_lo, s23
.LBB2_186:                              ;   in Loop: Header=BB2_53 Depth=1
	s_delay_alu instid0(SALU_CYCLE_1) | instskip(SKIP_1) | instid1(VALU_DEP_1)
	s_or_b32 exec_lo, exec_lo, s12
	v_and_b32_e32 v25, 16, v48
	v_cmp_ne_u32_e32 vcc_lo, 0, v25
	s_and_b32 s12, vcc_lo, s11
	s_delay_alu instid0(SALU_CYCLE_1)
	s_and_saveexec_b32 s11, s12
	s_cbranch_execz .LBB2_188
; %bb.187:                              ;   in Loop: Header=BB2_53 Depth=1
	s_waitcnt lgkmcnt(0)
	s_waitcnt_vscnt null, 0x0
	buffer_gl1_inv
	buffer_gl0_inv
.LBB2_188:                              ;   in Loop: Header=BB2_53 Depth=1
	s_or_b32 exec_lo, exec_lo, s11
	v_cmp_ne_u32_e32 vcc_lo, 0, v25
	s_xor_b32 s11, s10, -1
	s_delay_alu instid0(SALU_CYCLE_1) | instskip(NEXT) | instid1(SALU_CYCLE_1)
	s_and_b32 s12, vcc_lo, s11
	s_and_saveexec_b32 s11, s12
	s_cbranch_execz .LBB2_190
; %bb.189:                              ;   in Loop: Header=BB2_53 Depth=1
	s_waitcnt lgkmcnt(0)
	s_waitcnt_vscnt null, 0x0
	flat_store_b32 v[22:23], v71
.LBB2_190:                              ;   in Loop: Header=BB2_53 Depth=1
	s_or_b32 exec_lo, exec_lo, s11
	v_and_b32_e32 v25, 48, v48
	s_mov_b32 s11, exec_lo
	s_delay_alu instid0(VALU_DEP_1)
	v_cmpx_ne_u32_e32 0, v25
	s_cbranch_execz .LBB2_192
; %bb.191:                              ;   in Loop: Header=BB2_53 Depth=1
	v_add_co_u32 v8, vcc_lo, v8, 1
	v_add_co_ci_u32_e32 v9, vcc_lo, 0, v9, vcc_lo
	s_waitcnt lgkmcnt(0)
	s_waitcnt_vscnt null, 0x0
	flat_store_b64 v[16:17], v[8:9]
.LBB2_192:                              ;   in Loop: Header=BB2_53 Depth=1
	s_or_b32 exec_lo, exec_lo, s11
	v_mov_b32_e32 v25, v80
.LBB2_193:                              ;   in Loop: Header=BB2_53 Depth=1
	s_or_b32 exec_lo, exec_lo, s22
	s_and_saveexec_b32 s12, s21
	s_cbranch_execz .LBB2_253
; %bb.194:                              ;   in Loop: Header=BB2_53 Depth=1
	v_and_b32_e32 v32, 12, v48
	s_mov_b32 s21, -1
	s_mov_b32 s11, exec_lo
	s_delay_alu instid0(VALU_DEP_1)
	v_cmpx_ne_u32_e32 0, v32
	s_cbranch_execz .LBB2_208
; %bb.195:                              ;   in Loop: Header=BB2_53 Depth=1
	s_waitcnt lgkmcnt(0)
	v_and_b32_e32 v34, 8, v48
	s_delay_alu instid0(VALU_DEP_1) | instskip(SKIP_3) | instid1(VALU_DEP_1)
	v_add_co_u32 v35, vcc_lo, v20, v34
	v_add_co_ci_u32_e32 v36, vcc_lo, 0, v21, vcc_lo
	v_add_co_u32 v32, vcc_lo, v8, 1
	v_add_co_ci_u32_e32 v33, vcc_lo, 0, v9, vcc_lo
	v_cmp_lt_u64_e32 vcc_lo, v[35:36], v[32:33]
	v_mov_b32_e32 v35, 1
	s_and_saveexec_b32 s21, vcc_lo
	s_cbranch_execz .LBB2_207
; %bb.196:                              ;   in Loop: Header=BB2_53 Depth=1
	v_mov_b32_e32 v35, 0
	s_mov_b32 s22, 0
                                        ; implicit-def: $sgpr23
	s_branch .LBB2_200
.LBB2_197:                              ;   in Loop: Header=BB2_200 Depth=2
	s_or_b32 exec_lo, exec_lo, s27
	v_mov_b32_e32 v36, 0
	s_or_not1_b32 s26, s26, exec_lo
.LBB2_198:                              ;   in Loop: Header=BB2_200 Depth=2
	s_or_b32 exec_lo, exec_lo, s25
	s_delay_alu instid0(VALU_DEP_1) | instskip(SKIP_2) | instid1(SALU_CYCLE_1)
	v_mov_b32_e32 v35, v36
	s_and_not1_b32 s23, s23, exec_lo
	s_and_b32 s25, s26, exec_lo
	s_or_b32 s23, s23, s25
.LBB2_199:                              ;   in Loop: Header=BB2_200 Depth=2
	s_or_b32 exec_lo, exec_lo, s24
	s_waitcnt vmcnt(0) lgkmcnt(0)
	v_add_co_u32 v36, vcc_lo, v20, v34
	v_add_co_ci_u32_e32 v37, vcc_lo, 0, v21, vcc_lo
	s_xor_b32 s24, s23, -1
	s_delay_alu instid0(VALU_DEP_1) | instskip(SKIP_1) | instid1(SALU_CYCLE_1)
	v_cmp_ge_u64_e32 vcc_lo, v[36:37], v[32:33]
	s_or_b32 s24, s24, vcc_lo
	s_and_b32 s24, exec_lo, s24
	s_delay_alu instid0(SALU_CYCLE_1) | instskip(NEXT) | instid1(SALU_CYCLE_1)
	s_or_b32 s22, s24, s22
	s_and_not1_b32 exec_lo, exec_lo, s22
	s_cbranch_execz .LBB2_206
.LBB2_200:                              ;   Parent Loop BB2_53 Depth=1
                                        ; =>  This Inner Loop Header: Depth=2
	s_sleep 1
	flat_load_b64 v[20:21], v[16:17] glc
	v_and_b32_e32 v36, 64, v48
	s_and_not1_b32 s23, s23, exec_lo
	s_mov_b32 s24, exec_lo
	s_delay_alu instid0(VALU_DEP_1)
	v_cmpx_eq_u32_e32 0, v36
	s_cbranch_execz .LBB2_199
; %bb.201:                              ;   in Loop: Header=BB2_200 Depth=2
	v_add_nc_u32_e32 v36, 1, v35
	s_mov_b32 s26, -1
	s_mov_b32 s25, exec_lo
	v_cmpx_lt_i32_e32 0x270e, v35
	s_cbranch_execz .LBB2_198
; %bb.202:                              ;   in Loop: Header=BB2_200 Depth=2
	s_cbranch_execnz .LBB2_764
; %bb.203:                              ;   in Loop: Header=BB2_200 Depth=2
	ds_load_b64 v[35:36], v0
	s_mov_b32 s27, exec_lo
	s_waitcnt vmcnt(0) lgkmcnt(0)
	s_waitcnt_vscnt null, 0x0
	flat_load_b32 v35, v[35:36] glc
	s_waitcnt vmcnt(0) lgkmcnt(0)
	buffer_gl1_inv
	buffer_gl0_inv
	v_cmpx_ne_u32_e32 0, v35
	s_cbranch_execz .LBB2_197
; %bb.204:                              ;   in Loop: Header=BB2_200 Depth=2
	ds_store_b32 v0, v35
	s_cbranch_execnz .LBB2_788
; %bb.205:                              ;   in Loop: Header=BB2_200 Depth=2
	v_or_b32_e32 v48, 64, v48
	s_xor_b32 s26, exec_lo, -1
	s_branch .LBB2_197
.LBB2_206:                              ;   in Loop: Header=BB2_53 Depth=1
	s_or_b32 exec_lo, exec_lo, s22
	v_and_b32_e32 v35, 12, v48
.LBB2_207:                              ;   in Loop: Header=BB2_53 Depth=1
	s_or_b32 exec_lo, exec_lo, s21
	s_delay_alu instid0(VALU_DEP_1)
	v_cmp_eq_u32_e32 vcc_lo, 0, v35
	;;#ASMSTART
	s_wakeup
	;;#ASMEND
	s_or_not1_b32 s21, vcc_lo, exec_lo
.LBB2_208:                              ;   in Loop: Header=BB2_53 Depth=1
	s_or_b32 exec_lo, exec_lo, s11
	v_sub_nc_u32_e32 v24, v24, v25
	s_xor_b32 s11, s21, -1
	s_delay_alu instid0(VALU_DEP_1)
	v_min_i32_e32 v24, v80, v24
	s_and_saveexec_b32 s21, s11
	s_cbranch_execz .LBB2_223
; %bb.209:                              ;   in Loop: Header=BB2_53 Depth=1
	v_and_b32_e32 v25, 0x108, v48
	s_mov_b32 s11, exec_lo
	s_delay_alu instid0(VALU_DEP_1)
	v_cmpx_ne_u32_e32 0x108, v25
	s_xor_b32 s11, exec_lo, s11
                                        ; implicit-def: $vgpr32_vgpr33
	s_cbranch_execz .LBB2_211
; %bb.210:                              ;   in Loop: Header=BB2_53 Depth=1
	s_waitcnt lgkmcnt(0)
	v_and_b32_e32 v32, 7, v8
.LBB2_211:                              ;   in Loop: Header=BB2_53 Depth=1
	s_and_not1_saveexec_b32 s11, s11
	s_cbranch_execz .LBB2_213
; %bb.212:                              ;   in Loop: Header=BB2_53 Depth=1
	s_waitcnt lgkmcnt(0)
	v_and_b32_e32 v32, 7, v8
	v_ashrrev_i32_e32 v25, 31, v24
	s_delay_alu instid0(VALU_DEP_2) | instskip(NEXT) | instid1(VALU_DEP_2)
	v_mad_u64_u32 v[33:34], null, v32, 24, v[6:7]
	v_lshlrev_b64 v[35:36], 2, v[24:25]
	flat_store_b64 v[33:34], v[35:36] offset:8
.LBB2_213:                              ;   in Loop: Header=BB2_53 Depth=1
	s_or_b32 exec_lo, exec_lo, s11
	v_and_b32_e32 v25, 0x100, v48
	s_mov_b32 s11, -1
	s_mov_b32 s22, exec_lo
                                        ; implicit-def: $vgpr33_vgpr34
	s_delay_alu instid0(VALU_DEP_1)
	v_cmpx_ne_u32_e32 0, v25
	s_cbranch_execnz .LBB2_216
; %bb.214:                              ;   in Loop: Header=BB2_53 Depth=1
	s_or_b32 exec_lo, exec_lo, s22
	s_and_saveexec_b32 s22, s11
	s_cbranch_execnz .LBB2_219
.LBB2_215:                              ;   in Loop: Header=BB2_53 Depth=1
	s_or_b32 exec_lo, exec_lo, s22
	s_cbranch_execnz .LBB2_756
	s_branch .LBB2_220
.LBB2_216:                              ;   in Loop: Header=BB2_53 Depth=1
	v_mad_u64_u32 v[35:36], null, v32, 24, v[6:7]
	s_mov_b32 s23, exec_lo
	s_delay_alu instid0(VALU_DEP_1) | instskip(SKIP_1) | instid1(VALU_DEP_1)
	v_mov_b32_e32 v25, v36
	s_waitcnt lgkmcnt(0)
	v_mad_u64_u32 v[33:34], null, v26, 24, v[25:26]
	s_delay_alu instid0(VALU_DEP_1)
	v_mov_b32_e32 v36, v33
                                        ; implicit-def: $vgpr33_vgpr34
	flat_load_b32 v25, v[35:36]
	s_waitcnt vmcnt(0) lgkmcnt(0)
	v_cmp_ne_u32_e32 vcc_lo, 1, v25
	v_cmpx_eq_u32_e32 1, v25
	s_cbranch_execz .LBB2_218
; %bb.217:                              ;   in Loop: Header=BB2_53 Depth=1
	flat_load_b32 v33, v[35:36] offset:4 glc
	s_waitcnt vmcnt(0) lgkmcnt(0)
	v_ashrrev_i32_e32 v34, 31, v33
	s_delay_alu instid0(VALU_DEP_1)
	v_lshrrev_b64 v[33:34], 2, v[33:34]
.LBB2_218:                              ;   in Loop: Header=BB2_53 Depth=1
	s_or_b32 exec_lo, exec_lo, s23
	s_delay_alu instid0(SALU_CYCLE_1)
	s_or_not1_b32 s11, vcc_lo, exec_lo
	s_or_b32 exec_lo, exec_lo, s22
	s_and_saveexec_b32 s22, s11
	s_cbranch_execz .LBB2_215
.LBB2_219:                              ;   in Loop: Header=BB2_53 Depth=1
	v_mul_lo_u32 v25, v26, v50
	v_mul_lo_u32 v35, v32, v38
	s_waitcnt lgkmcnt(0)
	v_mad_u64_u32 v[33:34], null, v32, v50, 0
	s_delay_alu instid0(VALU_DEP_1)
	v_add3_u32 v34, v34, v35, v25
	s_or_b32 exec_lo, exec_lo, s22
	s_cbranch_execnz .LBB2_756
.LBB2_220:                              ;   in Loop: Header=BB2_53 Depth=1
	s_waitcnt lgkmcnt(0)
	s_delay_alu instid0(VALU_DEP_1) | instskip(SKIP_2) | instid1(VALU_DEP_2)
	v_lshlrev_b64 v[32:33], 2, v[33:34]
	v_and_b32_e32 v25, 0x2000, v48
	s_mov_b32 s11, exec_lo
	v_add_co_u32 v32, vcc_lo, v18, v32
	s_delay_alu instid0(VALU_DEP_3)
	v_add_co_ci_u32_e32 v33, vcc_lo, v19, v33, vcc_lo
	ds_store_b64 v0, v[32:33]
	v_cmpx_ne_u32_e32 0, v25
	s_cbranch_execz .LBB2_222
; %bb.221:                              ;   in Loop: Header=BB2_53 Depth=1
	ds_load_b64 v[32:33], v0 offset:584
	s_waitcnt lgkmcnt(0)
	v_add_co_u32 v32, vcc_lo, v32, 1
	v_add_co_ci_u32_e32 v33, vcc_lo, 0, v33, vcc_lo
	ds_store_b64 v0, v[32:33] offset:584
.LBB2_222:                              ;   in Loop: Header=BB2_53 Depth=1
	s_or_b32 exec_lo, exec_lo, s11
	v_add_co_u32 v8, vcc_lo, v8, 1
	v_add_co_ci_u32_e32 v9, vcc_lo, 0, v9, vcc_lo
.LBB2_223:                              ;   in Loop: Header=BB2_53 Depth=1
	s_or_b32 exec_lo, exec_lo, s21
	s_and_saveexec_b32 s11, s3
	s_cbranch_execz .LBB2_245
; %bb.224:                              ;   in Loop: Header=BB2_53 Depth=1
	s_and_saveexec_b32 s21, s4
	s_delay_alu instid0(SALU_CYCLE_1)
	s_xor_b32 s21, exec_lo, s21
	s_cbranch_execz .LBB2_242
; %bb.225:                              ;   in Loop: Header=BB2_53 Depth=1
	s_and_saveexec_b32 s22, s5
	s_cbranch_execz .LBB2_241
; %bb.226:                              ;   in Loop: Header=BB2_53 Depth=1
	s_mov_b32 s24, exec_lo
	s_mov_b32 s23, exec_lo
	v_mbcnt_lo_u32_b32 v25, s24, 0
	s_waitcnt lgkmcnt(0)
	s_waitcnt_vscnt null, 0x0
	buffer_gl1_inv
	buffer_gl0_inv
	v_cmpx_eq_u32_e32 0, v25
	s_cbranch_execz .LBB2_228
; %bb.227:                              ;   in Loop: Header=BB2_53 Depth=1
	s_bcnt1_i32_b32 s24, s24
	s_delay_alu instid0(SALU_CYCLE_1)
	v_mov_b32_e32 v25, s24
	ds_add_u64 v0, v[25:26]
	s_cbranch_execnz .LBB2_816
.LBB2_228:                              ;   in Loop: Header=BB2_53 Depth=1
	s_or_b32 exec_lo, exec_lo, s23
	s_cbranch_execnz .LBB2_802
; %bb.229:                              ;   in Loop: Header=BB2_53 Depth=1
	ds_load_b64 v[32:33], v0
	v_add_co_u32 v10, vcc_lo, v10, v39
	v_add_co_ci_u32_e32 v11, vcc_lo, 0, v11, vcc_lo
	s_mov_b32 s23, exec_lo
	s_waitcnt lgkmcnt(0)
	s_delay_alu instid0(VALU_DEP_1)
	v_cmpx_lt_u64_e64 v[32:33], v[10:11]
	s_cbranch_execz .LBB2_240
; %bb.230:                              ;   in Loop: Header=BB2_53 Depth=1
	s_mov_b32 s24, 0
	s_mov_b32 s27, 0
                                        ; implicit-def: $sgpr25
                                        ; implicit-def: $sgpr26
	s_branch .LBB2_232
.LBB2_231:                              ;   in Loop: Header=BB2_232 Depth=2
	s_or_b32 exec_lo, exec_lo, vcc_hi
	s_delay_alu instid0(SALU_CYCLE_1) | instskip(NEXT) | instid1(SALU_CYCLE_1)
	s_and_b32 s28, exec_lo, s29
	s_or_b32 s24, s28, s24
	s_and_not1_b32 s25, s25, exec_lo
	s_and_b32 s28, s26, exec_lo
	s_delay_alu instid0(SALU_CYCLE_1)
	s_or_b32 s25, s25, s28
	s_and_not1_b32 exec_lo, exec_lo, s24
	s_cbranch_execz .LBB2_238
.LBB2_232:                              ;   Parent Loop BB2_53 Depth=1
                                        ; =>  This Inner Loop Header: Depth=2
	s_add_i32 s27, s27, 1
                                        ; implicit-def: $sgpr29
	s_delay_alu instid0(SALU_CYCLE_1) | instskip(SKIP_1) | instid1(SALU_CYCLE_1)
	s_cmpk_lg_i32 s27, 0x2710
	s_cselect_b32 s28, -1, 0
	s_and_b32 vcc_lo, exec_lo, s28
	s_cbranch_vccz .LBB2_236
.LBB2_233:                              ;   in Loop: Header=BB2_232 Depth=2
	s_and_not1_b32 s26, s26, exec_lo
	s_and_b32 vcc_lo, s29, exec_lo
	s_mov_b32 s29, -1
	s_or_b32 s26, s26, vcc_lo
	s_and_saveexec_b32 vcc_hi, s28
	s_cbranch_execz .LBB2_231
; %bb.234:                              ;   in Loop: Header=BB2_232 Depth=2
	s_sleep 1
	s_cbranch_execnz .LBB2_862
; %bb.235:                              ;   in Loop: Header=BB2_232 Depth=2
	ds_load_b64 v[32:33], v0
	s_and_not1_b32 s26, s26, exec_lo
	s_waitcnt lgkmcnt(0)
	v_cmp_ge_u64_e32 vcc_lo, v[32:33], v[10:11]
	s_or_not1_b32 s29, vcc_lo, exec_lo
	s_branch .LBB2_231
.LBB2_236:                              ;   in Loop: Header=BB2_232 Depth=2
	s_cbranch_execnz .LBB2_882
; %bb.237:                              ;   in Loop: Header=BB2_232 Depth=2
	ds_load_b64 v[32:33], v0
	s_and_not1_b32 s28, s28, exec_lo
	s_mov_b32 s27, 0
	s_mov_b32 s29, -1
	s_waitcnt lgkmcnt(0)
	flat_load_b32 v25, v[32:33] glc
	s_waitcnt vmcnt(0) lgkmcnt(0)
	buffer_gl1_inv
	buffer_gl0_inv
	v_cmp_eq_u32_e32 vcc_lo, 0, v25
	s_and_b32 vcc_lo, vcc_lo, exec_lo
	s_delay_alu instid0(SALU_CYCLE_1)
	s_or_b32 s28, s28, vcc_lo
	s_branch .LBB2_233
.LBB2_238:                              ;   in Loop: Header=BB2_53 Depth=1
	s_or_b32 exec_lo, exec_lo, s24
	s_and_saveexec_b32 s24, s25
	s_delay_alu instid0(SALU_CYCLE_1)
	s_xor_b32 s24, exec_lo, s24
	s_cbranch_execz .LBB2_240
; %bb.239:                              ;   in Loop: Header=BB2_53 Depth=1
	ds_store_b32 v0, v71
	s_cbranch_execnz .LBB2_930
.LBB2_240:                              ;   in Loop: Header=BB2_53 Depth=1
	s_or_b32 exec_lo, exec_lo, s23
	;;#ASMSTART
	s_wakeup
	;;#ASMEND
.LBB2_241:                              ;   in Loop: Header=BB2_53 Depth=1
	s_or_b32 exec_lo, exec_lo, s22
.LBB2_242:                              ;   in Loop: Header=BB2_53 Depth=1
	s_and_not1_saveexec_b32 s21, s21
	s_cbranch_execz .LBB2_244
; %bb.243:                              ;   in Loop: Header=BB2_53 Depth=1
	s_waitcnt lgkmcnt(0)
	s_waitcnt_vscnt null, 0x0
	buffer_gl1_inv
	buffer_gl0_inv
	s_barrier
.LBB2_244:                              ;   in Loop: Header=BB2_53 Depth=1
	s_or_b32 exec_lo, exec_lo, s21
.LBB2_245:                              ;   in Loop: Header=BB2_53 Depth=1
	s_delay_alu instid0(SALU_CYCLE_1)
	s_or_b32 exec_lo, exec_lo, s11
	s_cbranch_execnz .LBB2_743
; %bb.246:                              ;   in Loop: Header=BB2_53 Depth=1
	ds_load_b32 v25, v0
	v_cmp_lt_i32_e32 vcc_lo, 0, v24
	s_waitcnt lgkmcnt(0)
	v_readfirstlane_b32 s11, v25
	v_and_b32_e32 v25, 16, v48
	s_delay_alu instid0(VALU_DEP_2) | instskip(NEXT) | instid1(VALU_DEP_1)
	s_cmp_eq_u32 s11, 0
	v_cmp_ne_u32_e64 s11, 0, v25
	s_cselect_b32 s21, -1, 0
	s_delay_alu instid0(SALU_CYCLE_1)
	s_and_b32 s21, vcc_lo, s21
	s_delay_alu instid0(VALU_DEP_1) | instid1(SALU_CYCLE_1)
	s_and_b32 s21, s11, s21
	s_delay_alu instid0(SALU_CYCLE_1)
	s_and_saveexec_b32 s11, s21
	s_cbranch_execz .LBB2_248
; %bb.247:                              ;   in Loop: Header=BB2_53 Depth=1
	s_waitcnt_vscnt null, 0x0
	buffer_gl1_inv
	buffer_gl0_inv
.LBB2_248:                              ;   in Loop: Header=BB2_53 Depth=1
	s_or_b32 exec_lo, exec_lo, s11
	v_cmp_ne_u32_e32 vcc_lo, 0, v25
	s_xor_b32 s11, s10, -1
	s_delay_alu instid0(SALU_CYCLE_1) | instskip(NEXT) | instid1(SALU_CYCLE_1)
	s_and_b32 s21, vcc_lo, s11
	s_and_saveexec_b32 s11, s21
	s_cbranch_execz .LBB2_250
; %bb.249:                              ;   in Loop: Header=BB2_53 Depth=1
	s_waitcnt_vscnt null, 0x0
	flat_store_b32 v[22:23], v71
.LBB2_250:                              ;   in Loop: Header=BB2_53 Depth=1
	s_or_b32 exec_lo, exec_lo, s11
	v_and_b32_e32 v24, 48, v48
	s_mov_b32 s11, exec_lo
	s_delay_alu instid0(VALU_DEP_1)
	v_cmpx_ne_u32_e32 0, v24
	s_cbranch_execz .LBB2_252
; %bb.251:                              ;   in Loop: Header=BB2_53 Depth=1
	v_add_co_u32 v8, vcc_lo, v8, 1
	v_add_co_ci_u32_e32 v9, vcc_lo, 0, v9, vcc_lo
	s_waitcnt lgkmcnt(0)
	s_waitcnt_vscnt null, 0x0
	flat_store_b64 v[16:17], v[8:9]
.LBB2_252:                              ;   in Loop: Header=BB2_53 Depth=1
	s_or_b32 exec_lo, exec_lo, s11
.LBB2_253:                              ;   in Loop: Header=BB2_53 Depth=1
	s_delay_alu instid0(SALU_CYCLE_1) | instskip(SKIP_2) | instid1(VALU_DEP_1)
	s_or_b32 exec_lo, exec_lo, s12
	v_add_co_u32 v27, vcc_lo, v27, v12
	v_add_co_ci_u32_e32 v28, vcc_lo, 0, v28, vcc_lo
	v_cmp_ge_u64_e32 vcc_lo, v[27:28], v[4:5]
	s_or_b32 s18, vcc_lo, s18
	s_delay_alu instid0(SALU_CYCLE_1)
	s_and_not1_b32 exec_lo, exec_lo, s18
	s_cbranch_execnz .LBB2_53
; %bb.254:
	s_or_b32 exec_lo, exec_lo, s18
.LBB2_255:
	s_delay_alu instid0(SALU_CYCLE_1)
	s_or_b32 exec_lo, exec_lo, s17
                                        ; implicit-def: $vgpr24_vgpr25
                                        ; implicit-def: $vgpr4_vgpr5
                                        ; implicit-def: $vgpr50
                                        ; implicit-def: $vgpr20_vgpr21
                                        ; implicit-def: $vgpr18_vgpr19
                                        ; implicit-def: $vgpr16_vgpr17
                                        ; implicit-def: $vgpr0
                                        ; implicit-def: $vgpr30
                                        ; implicit-def: $vgpr12_vgpr13
.LBB2_256:
	s_and_not1_saveexec_b32 s11, s16
	s_cbranch_execz .LBB2_449
; %bb.257:
	v_mov_b32_e32 v10, 0
	v_mov_b32_e32 v11, 0
	s_and_saveexec_b32 s12, s1
	s_cbranch_execz .LBB2_448
; %bb.258:
	v_cmp_ge_i32_e64 s1, v0, v1
	s_cbranch_execnz .LBB2_701
; %bb.259:
	v_lshrrev_b32_e32 v36, 5, v1
	v_and_b32_e32 v11, 31, v31
	v_ashrrev_i32_e32 v10, 31, v0
	s_lshr_b32 s4, s14, 27
	v_dual_mov_b32 v68, 1 :: v_dual_lshlrev_b32 v37, 4, v0
	v_lshlrev_b32_e32 v38, 9, v36
	s_add_i32 s10, s14, s4
	v_cmp_eq_u32_e64 s4, 0, v11
	v_lshrrev_b32_e32 v10, 27, v10
	s_waitcnt lgkmcnt(2)
	v_mov_b32_e32 v23, 0
	v_add_nc_u32_e32 v11, 0xfffffe00, v38
	v_lshlrev_b32_e32 v52, 7, v36
	v_cmp_eq_u32_e32 vcc_lo, 32, v1
	v_add_nc_u32_e32 v10, v0, v10
	v_cmp_ne_u32_e64 s2, 32, v1
	v_ashrrev_i32_e32 v26, 31, v11
	v_add_co_u32 v54, s7, 0x200, v11
	v_add_nc_u32_e32 v11, 0xffffff80, v52
	v_cmp_ne_u32_e64 s3, v49, v1
	s_delay_alu instid0(VALU_DEP_4)
	v_add_co_ci_u32_e64 v55, s7, 0, v26, s7
	v_mov_b32_e32 v26, 0
	v_dual_mov_b32 v27, 0 :: v_dual_and_b32 v22, 0xffffffe0, v10
	v_ashrrev_i32_e32 v10, 5, v10
	v_ashrrev_i32_e32 v39, 31, v37
	s_ashr_i32 s17, s10, 5
	s_mov_b32 s16, 0
	v_sub_nc_u32_e32 v51, v0, v22
	v_lshl_add_u32 v22, v36, 8, 0xffffff00
	v_sub_nc_u32_e32 v53, 0, v10
	s_xor_b32 s18, vcc_lo, -1
	s_delay_alu instid0(VALU_DEP_3) | instskip(NEXT) | instid1(VALU_DEP_3)
	v_cmp_le_i32_e64 s5, v51, v30
	v_ashrrev_i32_e32 v10, 31, v22
	v_add_co_u32 v64, s7, 0x100, v22
	v_cmp_gt_i32_e64 s6, 1, v51
	s_delay_alu instid0(VALU_DEP_3) | instskip(SKIP_2) | instid1(VALU_DEP_1)
	v_add_co_ci_u32_e64 v65, s7, 0, v10, s7
	v_ashrrev_i32_e32 v10, 31, v11
	v_add_co_u32 v66, s7, 0x80, v11
	v_add_co_ci_u32_e64 v67, s7, 0, v10, s7
	v_dual_mov_b32 v10, v26 :: v_dual_mov_b32 v11, v27
.LBB2_260:                              ; =>This Loop Header: Depth=1
                                        ;     Child Loop BB2_270 Depth 2
                                        ;     Child Loop BB2_297 Depth 2
	;; [unrolled: 1-line block ×10, first 2 shown]
	v_sub_co_u32 v28, vcc_lo, v4, v26
	v_sub_co_ci_u32_e32 v29, vcc_lo, v5, v27, vcc_lo
	s_waitcnt lgkmcnt(0)
	v_mov_b32_e32 v34, 0
	s_delay_alu instid0(VALU_DEP_2) | instskip(SKIP_2) | instid1(VALU_DEP_2)
	v_cmp_lt_u64_e32 vcc_lo, v[12:13], v[28:29]
	v_cndmask_b32_e32 v28, v28, v12, vcc_lo
	v_cndmask_b32_e64 v29, v29, 0, vcc_lo
	v_add_nc_u32_e32 v22, 15, v28
	s_delay_alu instid0(VALU_DEP_2) | instskip(NEXT) | instid1(VALU_DEP_2)
	v_cmp_eq_u64_e32 vcc_lo, 0, v[28:29]
	v_and_b32_e32 v22, 0x1ffffff0, v22
	s_or_b32 s19, s1, vcc_lo
	s_delay_alu instid0(SALU_CYCLE_1) | instskip(NEXT) | instid1(VALU_DEP_1)
	s_xor_b32 s7, s19, -1
	v_max_i32_e32 v69, s17, v22
	s_and_saveexec_b32 s20, s7
	s_cbranch_execz .LBB2_393
; %bb.261:                              ;   in Loop: Header=BB2_260 Depth=1
	s_and_saveexec_b32 s10, s0
	s_cbranch_execz .LBB2_264
; %bb.262:                              ;   in Loop: Header=BB2_260 Depth=1
	s_cbranch_execnz .LBB2_733
; %bb.263:                              ;   in Loop: Header=BB2_260 Depth=1
	ds_load_2addr_b64 v[32:35], v0 offset1:1
	ds_load_b64 v[29:30], v0
	v_add_co_u32 v70, vcc_lo, v26, v24
	v_add_co_ci_u32_e32 v71, vcc_lo, v27, v25, vcc_lo
	s_delay_alu instid0(VALU_DEP_1) | instskip(SKIP_1) | instid1(VALU_DEP_1)
	v_lshlrev_b64 v[70:71], 2, v[70:71]
	s_waitcnt lgkmcnt(1)
	v_add_co_u32 v32, vcc_lo, v32, v70
	s_delay_alu instid0(VALU_DEP_2)
	v_add_co_ci_u32_e32 v33, vcc_lo, v33, v71, vcc_lo
	s_waitcnt lgkmcnt(0)
	v_add_co_u32 v22, vcc_lo, v29, v70
	v_add_co_ci_u32_e32 v80, vcc_lo, v30, v71, vcc_lo
	v_cmp_ne_u64_e32 vcc_lo, 0, v[29:30]
	v_add_co_u32 v29, s7, v34, v70
	s_delay_alu instid0(VALU_DEP_1) | instskip(NEXT) | instid1(VALU_DEP_4)
	v_add_co_ci_u32_e64 v30, s7, v35, v71, s7
	v_dual_cndmask_b32 v35, 0, v80 :: v_dual_cndmask_b32 v34, 0, v22
	ds_store_b64 v0, v[32:33]
	ds_store_b64 v0, v[29:30]
	;; [unrolled: 1-line block ×3, first 2 shown]
.LBB2_264:                              ;   in Loop: Header=BB2_260 Depth=1
	s_or_b32 exec_lo, exec_lo, s10
	v_and_b32_e32 v22, 4, v48
	s_mov_b32 s10, -1
	s_mov_b32 s7, exec_lo
	s_delay_alu instid0(VALU_DEP_1)
	v_cmpx_ne_u32_e32 0, v22
	s_cbranch_execz .LBB2_278
; %bb.265:                              ;   in Loop: Header=BB2_260 Depth=1
	v_add_co_u32 v29, vcc_lo, v8, 1
	v_add_co_ci_u32_e32 v30, vcc_lo, 0, v9, vcc_lo
	v_mov_b32_e32 v22, 1
	s_mov_b32 s10, exec_lo
	s_delay_alu instid0(VALU_DEP_2)
	v_cmpx_lt_u64_e64 v[20:21], v[29:30]
	s_cbranch_execz .LBB2_277
; %bb.266:                              ;   in Loop: Header=BB2_260 Depth=1
	v_mov_b32_e32 v22, 0
	s_mov_b32 s21, 0
                                        ; implicit-def: $sgpr22
	s_branch .LBB2_270
.LBB2_267:                              ;   in Loop: Header=BB2_270 Depth=2
	s_or_b32 exec_lo, exec_lo, s26
	v_mov_b32_e32 v32, 0
	s_or_not1_b32 s25, s25, exec_lo
.LBB2_268:                              ;   in Loop: Header=BB2_270 Depth=2
	s_or_b32 exec_lo, exec_lo, s24
	s_delay_alu instid0(VALU_DEP_1) | instskip(SKIP_2) | instid1(SALU_CYCLE_1)
	v_mov_b32_e32 v22, v32
	s_and_not1_b32 s22, s22, exec_lo
	s_and_b32 s24, s25, exec_lo
	s_or_b32 s22, s22, s24
.LBB2_269:                              ;   in Loop: Header=BB2_270 Depth=2
	s_or_b32 exec_lo, exec_lo, s23
	s_waitcnt vmcnt(0) lgkmcnt(0)
	v_cmp_ge_u64_e32 vcc_lo, v[20:21], v[29:30]
	s_xor_b32 s23, s22, -1
	s_delay_alu instid0(SALU_CYCLE_1) | instskip(NEXT) | instid1(SALU_CYCLE_1)
	s_or_b32 s23, s23, vcc_lo
	s_and_b32 s23, exec_lo, s23
	s_delay_alu instid0(SALU_CYCLE_1) | instskip(NEXT) | instid1(SALU_CYCLE_1)
	s_or_b32 s21, s23, s21
	s_and_not1_b32 exec_lo, exec_lo, s21
	s_cbranch_execz .LBB2_276
.LBB2_270:                              ;   Parent Loop BB2_260 Depth=1
                                        ; =>  This Inner Loop Header: Depth=2
	s_sleep 1
	flat_load_b64 v[20:21], v[16:17] glc
	v_and_b32_e32 v32, 64, v48
	s_and_not1_b32 s22, s22, exec_lo
	s_mov_b32 s23, exec_lo
	s_delay_alu instid0(VALU_DEP_1)
	v_cmpx_eq_u32_e32 0, v32
	s_cbranch_execz .LBB2_269
; %bb.271:                              ;   in Loop: Header=BB2_270 Depth=2
	v_add_nc_u32_e32 v32, 1, v22
	s_mov_b32 s25, -1
	s_mov_b32 s24, exec_lo
	v_cmpx_lt_i32_e32 0x270e, v22
	s_cbranch_execz .LBB2_268
; %bb.272:                              ;   in Loop: Header=BB2_270 Depth=2
	s_cbranch_execnz .LBB2_758
; %bb.273:                              ;   in Loop: Header=BB2_270 Depth=2
	ds_load_b64 v[32:33], v0
	s_mov_b32 s26, exec_lo
	s_waitcnt vmcnt(0) lgkmcnt(0)
	s_waitcnt_vscnt null, 0x0
	flat_load_b32 v22, v[32:33] glc
	s_waitcnt vmcnt(0) lgkmcnt(0)
	buffer_gl1_inv
	buffer_gl0_inv
	v_cmpx_ne_u32_e32 0, v22
	s_cbranch_execz .LBB2_267
; %bb.274:                              ;   in Loop: Header=BB2_270 Depth=2
	ds_store_b32 v0, v22
	s_cbranch_execnz .LBB2_786
; %bb.275:                              ;   in Loop: Header=BB2_270 Depth=2
	v_or_b32_e32 v48, 64, v48
	s_xor_b32 s25, exec_lo, -1
	s_branch .LBB2_267
.LBB2_276:                              ;   in Loop: Header=BB2_260 Depth=1
	s_or_b32 exec_lo, exec_lo, s21
	v_and_b32_e32 v22, 4, v48
.LBB2_277:                              ;   in Loop: Header=BB2_260 Depth=1
	s_or_b32 exec_lo, exec_lo, s10
	s_delay_alu instid0(VALU_DEP_1)
	v_cmp_eq_u32_e32 vcc_lo, 0, v22
	;;#ASMSTART
	s_wakeup
	;;#ASMEND
	s_or_not1_b32 s10, vcc_lo, exec_lo
.LBB2_278:                              ;   in Loop: Header=BB2_260 Depth=1
	s_or_b32 exec_lo, exec_lo, s7
	s_xor_b32 s7, s10, -1
	s_delay_alu instid0(SALU_CYCLE_1)
	s_and_saveexec_b32 s10, s7
	s_cbranch_execz .LBB2_288
; %bb.279:                              ;   in Loop: Header=BB2_260 Depth=1
	v_and_b32_e32 v22, 0x100, v48
	s_mov_b32 s7, -1
                                        ; implicit-def: $vgpr29_vgpr30
	s_delay_alu instid0(VALU_DEP_1)
	v_cmp_ne_u32_e32 vcc_lo, 0, v22
	v_and_b32_e32 v22, 7, v8
	s_and_saveexec_b32 s21, vcc_lo
	s_cbranch_execz .LBB2_283
; %bb.280:                              ;   in Loop: Header=BB2_260 Depth=1
	s_delay_alu instid0(VALU_DEP_1) | instskip(SKIP_4) | instid1(VALU_DEP_1)
	v_mad_u64_u32 v[32:33], null, v22, 24, v[6:7]
	flat_load_b32 v29, v[32:33]
	s_waitcnt vmcnt(0) lgkmcnt(0)
	v_cmp_ne_u32_e32 vcc_lo, 1, v29
	v_cmp_eq_u32_e64 s7, 1, v29
                                        ; implicit-def: $vgpr29_vgpr30
	s_and_saveexec_b32 s22, s7
	s_cbranch_execz .LBB2_282
; %bb.281:                              ;   in Loop: Header=BB2_260 Depth=1
	flat_load_b32 v29, v[32:33] offset:4 glc
	s_waitcnt vmcnt(0) lgkmcnt(0)
	v_ashrrev_i32_e32 v30, 31, v29
	s_delay_alu instid0(VALU_DEP_1)
	v_lshrrev_b64 v[29:30], 2, v[29:30]
.LBB2_282:                              ;   in Loop: Header=BB2_260 Depth=1
	s_or_b32 exec_lo, exec_lo, s22
	s_delay_alu instid0(SALU_CYCLE_1)
	s_or_not1_b32 s7, vcc_lo, exec_lo
.LBB2_283:                              ;   in Loop: Header=BB2_260 Depth=1
	s_or_b32 exec_lo, exec_lo, s21
	s_and_saveexec_b32 s21, s7
; %bb.284:                              ;   in Loop: Header=BB2_260 Depth=1
	v_mad_i64_i32 v[29:30], null, v22, v50, 0
; %bb.285:                              ;   in Loop: Header=BB2_260 Depth=1
	s_or_b32 exec_lo, exec_lo, s21
	s_delay_alu instid0(VALU_DEP_1) | instskip(SKIP_2) | instid1(VALU_DEP_2)
	v_lshlrev_b64 v[29:30], 2, v[29:30]
	v_and_b32_e32 v22, 0x2000, v48
	s_mov_b32 s7, exec_lo
	v_add_co_u32 v29, vcc_lo, v18, v29
	s_delay_alu instid0(VALU_DEP_3)
	v_add_co_ci_u32_e32 v30, vcc_lo, v19, v30, vcc_lo
	ds_store_b64 v0, v[29:30] offset:728
	v_cmpx_ne_u32_e32 0, v22
	s_cbranch_execz .LBB2_287
; %bb.286:                              ;   in Loop: Header=BB2_260 Depth=1
	ds_load_b64 v[29:30], v0 offset:584
	s_waitcnt lgkmcnt(0)
	v_add_co_u32 v29, vcc_lo, v29, 1
	v_add_co_ci_u32_e32 v30, vcc_lo, 0, v30, vcc_lo
	ds_store_b64 v0, v[29:30] offset:584
.LBB2_287:                              ;   in Loop: Header=BB2_260 Depth=1
	s_or_b32 exec_lo, exec_lo, s7
	v_add_co_u32 v8, vcc_lo, v8, 1
	v_add_co_ci_u32_e32 v9, vcc_lo, 0, v9, vcc_lo
.LBB2_288:                              ;   in Loop: Header=BB2_260 Depth=1
	s_or_b32 exec_lo, exec_lo, s10
	s_and_saveexec_b32 s7, s2
	s_cbranch_execz .LBB2_310
; %bb.289:                              ;   in Loop: Header=BB2_260 Depth=1
	s_and_saveexec_b32 s10, s3
	s_delay_alu instid0(SALU_CYCLE_1)
	s_xor_b32 s10, exec_lo, s10
	s_cbranch_execz .LBB2_307
; %bb.290:                              ;   in Loop: Header=BB2_260 Depth=1
	s_and_saveexec_b32 s21, s4
	s_cbranch_execz .LBB2_306
; %bb.291:                              ;   in Loop: Header=BB2_260 Depth=1
	s_mov_b32 s23, exec_lo
	s_mov_b32 s22, exec_lo
	v_mbcnt_lo_u32_b32 v22, s23, 0
	s_waitcnt lgkmcnt(0)
	s_waitcnt_vscnt null, 0x0
	buffer_gl1_inv
	buffer_gl0_inv
	v_cmpx_eq_u32_e32 0, v22
	s_cbranch_execz .LBB2_293
; %bb.292:                              ;   in Loop: Header=BB2_260 Depth=1
	s_bcnt1_i32_b32 s23, s23
	s_delay_alu instid0(SALU_CYCLE_1)
	v_mov_b32_e32 v22, s23
	ds_add_u64 v0, v[22:23]
	s_cbranch_execnz .LBB2_804
.LBB2_293:                              ;   in Loop: Header=BB2_260 Depth=1
	s_or_b32 exec_lo, exec_lo, s22
	s_cbranch_execnz .LBB2_792
; %bb.294:                              ;   in Loop: Header=BB2_260 Depth=1
	ds_load_b64 v[29:30], v0
	v_add_co_u32 v10, vcc_lo, v10, v36
	v_add_co_ci_u32_e32 v11, vcc_lo, 0, v11, vcc_lo
	s_mov_b32 s22, exec_lo
	s_waitcnt lgkmcnt(0)
	s_delay_alu instid0(VALU_DEP_1)
	v_cmpx_lt_u64_e64 v[29:30], v[10:11]
	s_cbranch_execz .LBB2_305
; %bb.295:                              ;   in Loop: Header=BB2_260 Depth=1
	s_mov_b32 s23, 0
	s_mov_b32 s26, 0
                                        ; implicit-def: $sgpr24
                                        ; implicit-def: $sgpr25
	s_branch .LBB2_297
.LBB2_296:                              ;   in Loop: Header=BB2_297 Depth=2
	s_or_b32 exec_lo, exec_lo, s29
	s_delay_alu instid0(SALU_CYCLE_1) | instskip(NEXT) | instid1(SALU_CYCLE_1)
	s_and_b32 s27, exec_lo, s28
	s_or_b32 s23, s27, s23
	s_and_not1_b32 s24, s24, exec_lo
	s_and_b32 s27, s25, exec_lo
	s_delay_alu instid0(SALU_CYCLE_1)
	s_or_b32 s24, s24, s27
	s_and_not1_b32 exec_lo, exec_lo, s23
	s_cbranch_execz .LBB2_303
.LBB2_297:                              ;   Parent Loop BB2_260 Depth=1
                                        ; =>  This Inner Loop Header: Depth=2
	s_add_i32 s26, s26, 1
                                        ; implicit-def: $sgpr28
	s_delay_alu instid0(SALU_CYCLE_1) | instskip(SKIP_1) | instid1(SALU_CYCLE_1)
	s_cmpk_lg_i32 s26, 0x2710
	s_cselect_b32 s27, -1, 0
	s_and_b32 vcc_lo, exec_lo, s27
	s_cbranch_vccz .LBB2_301
.LBB2_298:                              ;   in Loop: Header=BB2_297 Depth=2
	s_and_not1_b32 s25, s25, exec_lo
	s_and_b32 s29, s28, exec_lo
	s_mov_b32 s28, -1
	s_or_b32 s25, s25, s29
	s_and_saveexec_b32 s29, s27
	s_cbranch_execz .LBB2_296
; %bb.299:                              ;   in Loop: Header=BB2_297 Depth=2
	s_sleep 1
	s_cbranch_execnz .LBB2_836
; %bb.300:                              ;   in Loop: Header=BB2_297 Depth=2
	ds_load_b64 v[29:30], v0
	s_and_not1_b32 s25, s25, exec_lo
	s_waitcnt lgkmcnt(0)
	v_cmp_ge_u64_e32 vcc_lo, v[29:30], v[10:11]
	s_or_not1_b32 s28, vcc_lo, exec_lo
	s_branch .LBB2_296
.LBB2_301:                              ;   in Loop: Header=BB2_297 Depth=2
	s_cbranch_execnz .LBB2_848
; %bb.302:                              ;   in Loop: Header=BB2_297 Depth=2
	ds_load_b64 v[29:30], v0
	s_and_not1_b32 s27, s27, exec_lo
	s_mov_b32 s26, 0
	s_mov_b32 s28, -1
	s_waitcnt lgkmcnt(0)
	flat_load_b32 v22, v[29:30] glc
	s_waitcnt vmcnt(0) lgkmcnt(0)
	buffer_gl1_inv
	buffer_gl0_inv
	v_cmp_eq_u32_e32 vcc_lo, 0, v22
	s_and_b32 s29, vcc_lo, exec_lo
	s_delay_alu instid0(SALU_CYCLE_1)
	s_or_b32 s27, s27, s29
	s_branch .LBB2_298
.LBB2_303:                              ;   in Loop: Header=BB2_260 Depth=1
	s_or_b32 exec_lo, exec_lo, s23
	s_and_saveexec_b32 s23, s24
	s_delay_alu instid0(SALU_CYCLE_1)
	s_xor_b32 s23, exec_lo, s23
	s_cbranch_execz .LBB2_305
; %bb.304:                              ;   in Loop: Header=BB2_260 Depth=1
	ds_store_b32 v0, v68
	s_cbranch_execnz .LBB2_922
.LBB2_305:                              ;   in Loop: Header=BB2_260 Depth=1
	s_or_b32 exec_lo, exec_lo, s22
	;;#ASMSTART
	s_wakeup
	;;#ASMEND
.LBB2_306:                              ;   in Loop: Header=BB2_260 Depth=1
	s_or_b32 exec_lo, exec_lo, s21
.LBB2_307:                              ;   in Loop: Header=BB2_260 Depth=1
	s_and_not1_saveexec_b32 s10, s10
	s_cbranch_execz .LBB2_309
; %bb.308:                              ;   in Loop: Header=BB2_260 Depth=1
	s_waitcnt lgkmcnt(0)
	s_waitcnt_vscnt null, 0x0
	buffer_gl1_inv
	buffer_gl0_inv
	s_barrier
.LBB2_309:                              ;   in Loop: Header=BB2_260 Depth=1
	s_or_b32 exec_lo, exec_lo, s10
.LBB2_310:                              ;   in Loop: Header=BB2_260 Depth=1
	s_delay_alu instid0(SALU_CYCLE_1)
	s_or_b32 exec_lo, exec_lo, s7
	s_cbranch_execnz .LBB2_729
; %bb.311:                              ;   in Loop: Header=BB2_260 Depth=1
	ds_load_b32 v29, v0
	v_and_b32_e32 v22, 0x4000, v48
	s_delay_alu instid0(VALU_DEP_1) | instskip(SKIP_1) | instid1(SALU_CYCLE_1)
	v_cmp_ne_u32_e32 vcc_lo, 0, v22
	s_and_b32 s10, s18, vcc_lo
	s_and_saveexec_b32 s7, s10
	s_cbranch_execz .LBB2_333
; %bb.312:                              ;   in Loop: Header=BB2_260 Depth=1
	s_and_saveexec_b32 s10, s3
	s_delay_alu instid0(SALU_CYCLE_1)
	s_xor_b32 s10, exec_lo, s10
	s_cbranch_execz .LBB2_330
; %bb.313:                              ;   in Loop: Header=BB2_260 Depth=1
	s_and_saveexec_b32 s21, s4
	s_cbranch_execz .LBB2_329
; %bb.314:                              ;   in Loop: Header=BB2_260 Depth=1
	s_mov_b32 s23, exec_lo
	s_mov_b32 s22, exec_lo
	v_mbcnt_lo_u32_b32 v22, s23, 0
	s_waitcnt lgkmcnt(0)
	s_waitcnt_vscnt null, 0x0
	buffer_gl1_inv
	buffer_gl0_inv
	v_cmpx_eq_u32_e32 0, v22
	s_cbranch_execz .LBB2_316
; %bb.315:                              ;   in Loop: Header=BB2_260 Depth=1
	s_bcnt1_i32_b32 s23, s23
	s_delay_alu instid0(SALU_CYCLE_1)
	v_mov_b32_e32 v22, s23
	ds_add_u64 v0, v[22:23]
	s_cbranch_execnz .LBB2_832
.LBB2_316:                              ;   in Loop: Header=BB2_260 Depth=1
	s_or_b32 exec_lo, exec_lo, s22
	s_cbranch_execnz .LBB2_818
; %bb.317:                              ;   in Loop: Header=BB2_260 Depth=1
	ds_load_b64 v[32:33], v0
	v_add_co_u32 v10, vcc_lo, v10, v36
	v_add_co_ci_u32_e32 v11, vcc_lo, 0, v11, vcc_lo
	s_mov_b32 s22, exec_lo
	s_waitcnt lgkmcnt(0)
	s_delay_alu instid0(VALU_DEP_1)
	v_cmpx_lt_u64_e64 v[32:33], v[10:11]
	s_cbranch_execz .LBB2_328
; %bb.318:                              ;   in Loop: Header=BB2_260 Depth=1
	s_mov_b32 s23, 0
	s_mov_b32 s26, 0
                                        ; implicit-def: $sgpr24
                                        ; implicit-def: $sgpr25
	s_branch .LBB2_320
.LBB2_319:                              ;   in Loop: Header=BB2_320 Depth=2
	s_or_b32 exec_lo, exec_lo, s29
	s_delay_alu instid0(SALU_CYCLE_1) | instskip(NEXT) | instid1(SALU_CYCLE_1)
	s_and_b32 s27, exec_lo, s28
	s_or_b32 s23, s27, s23
	s_and_not1_b32 s24, s24, exec_lo
	s_and_b32 s27, s25, exec_lo
	s_delay_alu instid0(SALU_CYCLE_1)
	s_or_b32 s24, s24, s27
	s_and_not1_b32 exec_lo, exec_lo, s23
	s_cbranch_execz .LBB2_326
.LBB2_320:                              ;   Parent Loop BB2_260 Depth=1
                                        ; =>  This Inner Loop Header: Depth=2
	s_add_i32 s26, s26, 1
                                        ; implicit-def: $sgpr28
	s_delay_alu instid0(SALU_CYCLE_1) | instskip(SKIP_1) | instid1(SALU_CYCLE_1)
	s_cmpk_lg_i32 s26, 0x2710
	s_cselect_b32 s27, -1, 0
	s_and_b32 vcc_lo, exec_lo, s27
	s_cbranch_vccz .LBB2_324
.LBB2_321:                              ;   in Loop: Header=BB2_320 Depth=2
	s_and_not1_b32 s25, s25, exec_lo
	s_and_b32 s29, s28, exec_lo
	s_mov_b32 s28, -1
	s_or_b32 s25, s25, s29
	s_and_saveexec_b32 s29, s27
	s_cbranch_execz .LBB2_319
; %bb.322:                              ;   in Loop: Header=BB2_320 Depth=2
	s_sleep 1
	s_cbranch_execnz .LBB2_884
; %bb.323:                              ;   in Loop: Header=BB2_320 Depth=2
	ds_load_b64 v[32:33], v0
	s_and_not1_b32 s25, s25, exec_lo
	s_waitcnt lgkmcnt(0)
	v_cmp_ge_u64_e32 vcc_lo, v[32:33], v[10:11]
	s_or_not1_b32 s28, vcc_lo, exec_lo
	s_branch .LBB2_319
.LBB2_324:                              ;   in Loop: Header=BB2_320 Depth=2
	s_cbranch_execnz .LBB2_894
; %bb.325:                              ;   in Loop: Header=BB2_320 Depth=2
	ds_load_b64 v[32:33], v0
	s_and_not1_b32 s27, s27, exec_lo
	s_mov_b32 s26, 0
	s_mov_b32 s28, -1
	s_waitcnt lgkmcnt(0)
	flat_load_b32 v22, v[32:33] glc
	s_waitcnt vmcnt(0) lgkmcnt(0)
	buffer_gl1_inv
	buffer_gl0_inv
	v_cmp_eq_u32_e32 vcc_lo, 0, v22
	s_and_b32 s29, vcc_lo, exec_lo
	s_delay_alu instid0(SALU_CYCLE_1)
	s_or_b32 s27, s27, s29
	s_branch .LBB2_321
.LBB2_326:                              ;   in Loop: Header=BB2_260 Depth=1
	s_or_b32 exec_lo, exec_lo, s23
	s_and_saveexec_b32 s23, s24
	s_delay_alu instid0(SALU_CYCLE_1)
	s_xor_b32 s23, exec_lo, s23
	s_cbranch_execz .LBB2_328
; %bb.327:                              ;   in Loop: Header=BB2_260 Depth=1
	ds_store_b32 v0, v68
	s_cbranch_execnz .LBB2_932
.LBB2_328:                              ;   in Loop: Header=BB2_260 Depth=1
	s_or_b32 exec_lo, exec_lo, s22
	;;#ASMSTART
	s_wakeup
	;;#ASMEND
.LBB2_329:                              ;   in Loop: Header=BB2_260 Depth=1
	s_or_b32 exec_lo, exec_lo, s21
.LBB2_330:                              ;   in Loop: Header=BB2_260 Depth=1
	s_and_not1_saveexec_b32 s10, s10
	s_cbranch_execz .LBB2_332
; %bb.331:                              ;   in Loop: Header=BB2_260 Depth=1
	s_waitcnt lgkmcnt(0)
	s_waitcnt_vscnt null, 0x0
	buffer_gl1_inv
	buffer_gl0_inv
	s_barrier
.LBB2_332:                              ;   in Loop: Header=BB2_260 Depth=1
	s_or_b32 exec_lo, exec_lo, s10
.LBB2_333:                              ;   in Loop: Header=BB2_260 Depth=1
	s_delay_alu instid0(SALU_CYCLE_1)
	s_or_b32 exec_lo, exec_lo, s7
	s_cbranch_execnz .LBB2_762
; %bb.334:                              ;   in Loop: Header=BB2_260 Depth=1
	ds_load_b64 v[32:33], v0
	v_min_u32_e32 v69, v69, v28
	s_waitcnt lgkmcnt(0)
	v_cmp_eq_u64_e32 vcc_lo, 0, v[32:33]
	s_or_b32 s7, vcc_lo, vcc_lo
	s_delay_alu instid0(SALU_CYCLE_1)
	s_and_b32 vcc_lo, exec_lo, s7
	s_mov_b32 s7, 0
	s_cbranch_vccnz .LBB2_366
; %bb.335:                              ;   in Loop: Header=BB2_260 Depth=1
	s_mov_b32 s7, -1
	s_and_saveexec_b32 s10, s5
	s_cbranch_execz .LBB2_337
; %bb.336:                              ;   in Loop: Header=BB2_260 Depth=1
	ds_load_b32 v22, v0 offset:720
	s_waitcnt lgkmcnt(0)
	v_and_b32_e32 v22, 15, v22
	s_delay_alu instid0(VALU_DEP_1)
	v_cmp_eq_u32_e32 vcc_lo, 0, v22
	s_or_not1_b32 s7, vcc_lo, exec_lo
.LBB2_337:                              ;   in Loop: Header=BB2_260 Depth=1
	s_or_b32 exec_lo, exec_lo, s10
	s_and_saveexec_b32 s10, s6
	s_cbranch_execz .LBB2_339
; %bb.338:                              ;   in Loop: Header=BB2_260 Depth=1
	ds_load_b32 v22, v0 offset:784
	s_waitcnt lgkmcnt(0)
	v_and_b32_e32 v22, 15, v22
	s_delay_alu instid0(VALU_DEP_1) | instskip(SKIP_3) | instid1(SALU_CYCLE_1)
	v_cmp_eq_u32_e32 vcc_lo, 0, v22
	s_and_b32 s21, s7, vcc_lo
	s_and_not1_b32 s7, s7, exec_lo
	s_and_b32 s21, s21, exec_lo
	s_or_b32 s7, s7, s21
.LBB2_339:                              ;   in Loop: Header=BB2_260 Depth=1
	s_or_b32 exec_lo, exec_lo, s10
	v_cmp_eq_u32_e32 vcc_lo, 0, v29
	s_xor_b32 s7, s7, -1
	s_mov_b32 s22, -1
	v_cndmask_b32_e64 v30, 0, 1, s7
	;;#ASMSTART
	;;#ASMEND
	v_dual_cndmask_b32 v22, 0, v69 :: v_dual_mov_b32 v71, 0
	s_delay_alu instid0(VALU_DEP_2) | instskip(NEXT) | instid1(VALU_DEP_2)
	v_cmp_ne_u32_e32 vcc_lo, 0, v30
	v_lshlrev_b32_e32 v70, 2, v22
	s_cbranch_vccz .LBB2_341
; %bb.340:                              ;   in Loop: Header=BB2_260 Depth=1
	v_mov_b32_e32 v80, v0
	s_branch .LBB2_354
.LBB2_341:                              ;   in Loop: Header=BB2_260 Depth=1
	v_lshrrev_b32_e32 v29, 7, v22
	s_delay_alu instid0(VALU_DEP_2) | instskip(SKIP_1) | instid1(VALU_DEP_2)
	v_sub_nc_u32_e32 v71, v70, v37
	s_mov_b32 s21, exec_lo
	v_lshlrev_b32_e32 v81, 9, v29
	s_delay_alu instid0(VALU_DEP_1) | instskip(NEXT) | instid1(VALU_DEP_1)
	v_sub_nc_u32_e32 v83, v70, v81
	v_cmp_lt_i32_e32 vcc_lo, 15, v83
	v_add_co_ci_u32_e64 v84, s7, v29, v53, vcc_lo
	v_cmpx_lt_i32_e32 15, v71
	s_cbranch_execz .LBB2_346
; %bb.342:                              ;   in Loop: Header=BB2_260 Depth=1
	s_cbranch_execnz .LBB2_850
; %bb.343:                              ;   in Loop: Header=BB2_260 Depth=1
	ds_load_b128 v[32:35], v0
	ds_load_b64 v[85:86], v0
	s_mov_b32 s22, 0
	s_waitcnt lgkmcnt(1)
	v_add_co_u32 v29, s7, v32, v37
	s_delay_alu instid0(VALU_DEP_1) | instskip(SKIP_1) | instid1(VALU_DEP_1)
	v_add_co_ci_u32_e64 v30, s7, v33, v39, s7
	v_add_co_u32 v32, s7, v34, v37
	v_add_co_ci_u32_e64 v33, s7, v35, v39, s7
	s_waitcnt lgkmcnt(0)
	v_add_co_u32 v34, s7, v85, v37
	s_delay_alu instid0(VALU_DEP_1)
	v_add_co_ci_u32_e64 v35, s7, v86, v39, s7
.LBB2_344:                              ;   Parent Loop BB2_260 Depth=1
                                        ; =>  This Inner Loop Header: Depth=2
	global_load_b128 v[96:99], v[29:30], off slc dlc
	global_load_b128 v[100:103], v[32:33], off slc dlc
	v_add_co_u32 v29, s7, v29, v54
	v_sub_nc_u32_e32 v71, v71, v38
	v_add_co_ci_u32_e64 v30, s7, v30, v55, s7
	v_add_co_u32 v32, s7, v32, v54
	s_delay_alu instid0(VALU_DEP_1) | instskip(NEXT) | instid1(VALU_DEP_4)
	v_add_co_ci_u32_e64 v33, s7, v33, v55, s7
	v_cmp_gt_i32_e64 s7, 16, v71
	v_sub_nc_u32_e32 v84, v84, v36
	s_delay_alu instid0(VALU_DEP_2)
	s_or_b32 s22, s7, s22
	s_waitcnt vmcnt(0)
	v_dual_mul_f32 v96, v96, v100 :: v_dual_mul_f32 v97, v97, v101
	v_dual_mul_f32 v98, v98, v102 :: v_dual_mul_f32 v99, v99, v103
	global_store_b128 v[34:35], v[96:99], off glc slc dlc
	v_add_co_u32 v34, s10, v34, v54
	s_delay_alu instid0(VALU_DEP_1)
	v_add_co_ci_u32_e64 v35, s10, v35, v55, s10
	s_and_not1_b32 exec_lo, exec_lo, s22
	s_cbranch_execnz .LBB2_344
; %bb.345:                              ;   in Loop: Header=BB2_260 Depth=1
	s_or_b32 exec_lo, exec_lo, s22
.LBB2_346:                              ;   in Loop: Header=BB2_260 Depth=1
	s_delay_alu instid0(SALU_CYCLE_1) | instskip(SKIP_3) | instid1(VALU_DEP_1)
	s_or_b32 exec_lo, exec_lo, s21
	v_and_b32_e32 v29, 12, v70
	s_mov_b32 s22, 0
	s_mov_b32 s21, exec_lo
                                        ; implicit-def: $vgpr70
                                        ; implicit-def: $vgpr80
	v_dual_mov_b32 v71, 0 :: v_dual_cndmask_b32 v82, v83, v29
	s_delay_alu instid0(VALU_DEP_1)
	v_cmpx_ne_u32_e32 0, v82
	s_cbranch_execz .LBB2_353
; %bb.347:                              ;   in Loop: Header=BB2_260 Depth=1
	v_cmp_lt_i32_e64 s7, 0, v84
	v_ashrrev_i32_e32 v33, 31, v82
	s_mov_b32 s22, exec_lo
	s_delay_alu instid0(VALU_DEP_2) | instskip(NEXT) | instid1(VALU_DEP_2)
	v_cndmask_b32_e64 v30, 0, v36, s7
	v_lshrrev_b32_e32 v33, 23, v33
	s_delay_alu instid0(VALU_DEP_2) | instskip(NEXT) | instid1(VALU_DEP_1)
	v_sub_nc_u32_e32 v30, v30, v84
	v_lshl_add_u32 v30, v30, 5, v51
	s_delay_alu instid0(VALU_DEP_1) | instskip(NEXT) | instid1(VALU_DEP_1)
	v_ashrrev_i32_e32 v32, 31, v30
	v_lshrrev_b32_e32 v32, 27, v32
	s_delay_alu instid0(VALU_DEP_1) | instskip(NEXT) | instid1(VALU_DEP_1)
	v_add_nc_u32_e32 v32, v30, v32
	v_and_b32_e32 v34, 0xffffffe0, v32
	s_delay_alu instid0(VALU_DEP_1) | instskip(SKIP_3) | instid1(VALU_DEP_4)
	v_sub_nc_u32_e32 v80, v30, v34
	v_ashrrev_i32_e32 v30, 5, v32
	v_sub_nc_u32_e32 v34, v83, v29
	v_add_nc_u32_e32 v33, v82, v33
	v_lshlrev_b32_e32 v32, 4, v80
	s_delay_alu instid0(VALU_DEP_1) | instskip(NEXT) | instid1(VALU_DEP_3)
	v_lshl_add_u32 v29, v30, 9, v32
	v_dual_cndmask_b32 v32, 0, v34 :: v_dual_and_b32 v71, 0xfffffe00, v33
	v_ashrrev_i32_e32 v33, 9, v33
	s_delay_alu instid0(VALU_DEP_3) | instskip(NEXT) | instid1(VALU_DEP_3)
	v_sub_nc_u32_e32 v84, v82, v29
	v_add_nc_u32_e32 v81, v32, v81
	s_delay_alu instid0(VALU_DEP_4) | instskip(NEXT) | instid1(VALU_DEP_1)
	v_sub_nc_u32_e32 v70, v82, v71
	v_cmp_lt_i32_e32 vcc_lo, 15, v70
	v_add_co_ci_u32_e64 v33, s7, 0, v33, vcc_lo
	s_delay_alu instid0(VALU_DEP_1)
	v_sub_nc_u32_e32 v83, v33, v30
	v_cmpx_lt_i32_e32 15, v84
	s_cbranch_execz .LBB2_352
; %bb.348:                              ;   in Loop: Header=BB2_260 Depth=1
	s_cbranch_execnz .LBB2_904
; %bb.349:                              ;   in Loop: Header=BB2_260 Depth=1
	ds_load_b128 v[32:35], v0
	ds_load_b64 v[85:86], v0
	v_add_nc_u32_e32 v87, v29, v81
	s_mov_b32 s23, 0
	s_delay_alu instid0(VALU_DEP_1) | instskip(SKIP_2) | instid1(VALU_DEP_1)
	v_ashrrev_i32_e32 v96, 31, v87
	s_waitcnt lgkmcnt(1)
	v_add_co_u32 v29, s7, v32, v87
	v_add_co_ci_u32_e64 v30, s7, v33, v96, s7
	v_add_co_u32 v32, s7, v34, v87
	s_delay_alu instid0(VALU_DEP_1) | instskip(SKIP_2) | instid1(VALU_DEP_1)
	v_add_co_ci_u32_e64 v33, s7, v35, v96, s7
	s_waitcnt lgkmcnt(0)
	v_add_co_u32 v34, s7, v85, v87
	v_add_co_ci_u32_e64 v35, s7, v86, v96, s7
.LBB2_350:                              ;   Parent Loop BB2_260 Depth=1
                                        ; =>  This Inner Loop Header: Depth=2
	global_load_b128 v[96:99], v[29:30], off slc dlc
	global_load_b128 v[100:103], v[32:33], off slc dlc
	v_add_co_u32 v29, s7, v29, v54
	v_sub_nc_u32_e32 v84, v84, v38
	v_add_co_ci_u32_e64 v30, s7, v30, v55, s7
	v_add_co_u32 v32, s7, v32, v54
	s_delay_alu instid0(VALU_DEP_1) | instskip(NEXT) | instid1(VALU_DEP_4)
	v_add_co_ci_u32_e64 v33, s7, v33, v55, s7
	v_cmp_gt_i32_e64 s7, 16, v84
	v_sub_nc_u32_e32 v83, v83, v36
	s_delay_alu instid0(VALU_DEP_2)
	s_or_b32 s23, s7, s23
	s_waitcnt vmcnt(0)
	v_dual_mul_f32 v96, v96, v100 :: v_dual_mul_f32 v97, v97, v101
	v_dual_mul_f32 v98, v98, v102 :: v_dual_mul_f32 v99, v99, v103
	global_store_b128 v[34:35], v[96:99], off glc slc dlc
	v_add_co_u32 v34, s10, v34, v54
	s_delay_alu instid0(VALU_DEP_1)
	v_add_co_ci_u32_e64 v35, s10, v35, v55, s10
	s_and_not1_b32 exec_lo, exec_lo, s23
	s_cbranch_execnz .LBB2_350
; %bb.351:                              ;   in Loop: Header=BB2_260 Depth=1
	s_or_b32 exec_lo, exec_lo, s23
.LBB2_352:                              ;   in Loop: Header=BB2_260 Depth=1
	s_delay_alu instid0(SALU_CYCLE_1) | instskip(SKIP_2) | instid1(VALU_DEP_2)
	s_or_b32 exec_lo, exec_lo, s22
	v_and_b32_e32 v29, 12, v82
	v_cmp_lt_i32_e64 s7, 0, v83
	v_sub_nc_u32_e32 v30, v70, v29
	s_delay_alu instid0(VALU_DEP_2) | instskip(NEXT) | instid1(VALU_DEP_2)
	v_cndmask_b32_e64 v32, 0, v36, s7
	v_dual_cndmask_b32 v70, v70, v29 :: v_dual_cndmask_b32 v29, 0, v30
	s_delay_alu instid0(VALU_DEP_2) | instskip(NEXT) | instid1(VALU_DEP_2)
	v_sub_nc_u32_e32 v30, v32, v83
	v_cmp_ne_u32_e32 vcc_lo, 0, v70
	s_delay_alu instid0(VALU_DEP_3) | instskip(NEXT) | instid1(VALU_DEP_3)
	v_add3_u32 v71, v71, v81, v29
	v_lshl_add_u32 v80, v30, 5, v80
	s_and_b32 s22, vcc_lo, exec_lo
.LBB2_353:                              ;   in Loop: Header=BB2_260 Depth=1
	s_or_b32 exec_lo, exec_lo, s21
.LBB2_354:                              ;   in Loop: Header=BB2_260 Depth=1
	s_and_saveexec_b32 s10, s22
	s_cbranch_execz .LBB2_365
; %bb.355:                              ;   in Loop: Header=BB2_260 Depth=1
	s_delay_alu instid0(VALU_DEP_1) | instskip(SKIP_2) | instid1(VALU_DEP_2)
	v_ashrrev_i32_e32 v29, 31, v80
	v_ashrrev_i32_e32 v30, 31, v70
	s_mov_b32 s21, exec_lo
	v_lshrrev_b32_e32 v29, 27, v29
	s_delay_alu instid0(VALU_DEP_2) | instskip(NEXT) | instid1(VALU_DEP_2)
	v_lshrrev_b32_e32 v30, 24, v30
	v_add_nc_u32_e32 v29, v80, v29
	s_delay_alu instid0(VALU_DEP_2) | instskip(NEXT) | instid1(VALU_DEP_2)
	v_add_nc_u32_e32 v30, v70, v30
	v_ashrrev_i32_e32 v81, 5, v29
	s_delay_alu instid0(VALU_DEP_2) | instskip(NEXT) | instid1(VALU_DEP_1)
	v_ashrrev_i32_e32 v83, 8, v30
	v_sub_nc_u32_e32 v82, v83, v81
	s_delay_alu instid0(VALU_DEP_1)
	v_cmpx_lt_i32_e32 0, v82
	s_cbranch_execz .LBB2_360
; %bb.356:                              ;   in Loop: Header=BB2_260 Depth=1
	s_cbranch_execnz .LBB2_844
; %bb.357:                              ;   in Loop: Header=BB2_260 Depth=1
	v_and_b32_e32 v29, 0x3fffffe0, v29
	ds_load_b128 v[32:35], v0
	ds_load_b64 v[84:85], v0
	v_lshlrev_b32_e32 v30, 8, v81
	s_mov_b32 s22, 0
	v_sub_nc_u32_e32 v29, v80, v29
	s_delay_alu instid0(VALU_DEP_1) | instskip(NEXT) | instid1(VALU_DEP_1)
	v_lshlrev_b32_e32 v29, 2, v29
	v_add3_u32 v86, v29, v71, v30
	s_delay_alu instid0(VALU_DEP_1) | instskip(SKIP_2) | instid1(VALU_DEP_2)
	v_ashrrev_i32_e32 v87, 31, v86
	s_waitcnt lgkmcnt(1)
	v_add_co_u32 v29, vcc_lo, v32, v86
	v_add_co_ci_u32_e32 v30, vcc_lo, v33, v87, vcc_lo
	v_add_co_u32 v32, vcc_lo, v34, v86
	v_add_co_ci_u32_e32 v33, vcc_lo, v35, v87, vcc_lo
	s_waitcnt lgkmcnt(0)
	v_add_co_u32 v34, vcc_lo, v84, v86
	v_add_co_ci_u32_e32 v35, vcc_lo, v85, v87, vcc_lo
.LBB2_358:                              ;   Parent Loop BB2_260 Depth=1
                                        ; =>  This Inner Loop Header: Depth=2
	s_clause 0x1
	flat_load_b32 v84, v[29:30] slc dlc
	flat_load_b32 v85, v[29:30] offset:128 slc dlc
	s_clause 0x1
	flat_load_b32 v86, v[32:33] slc dlc
	flat_load_b32 v87, v[32:33] offset:128 slc dlc
	v_add_co_u32 v29, vcc_lo, v29, v64
	v_sub_nc_u32_e32 v82, v82, v36
	v_add_co_ci_u32_e32 v30, vcc_lo, v30, v65, vcc_lo
	v_add_co_u32 v32, vcc_lo, v32, v64
	v_add_co_ci_u32_e32 v33, vcc_lo, v33, v65, vcc_lo
	s_delay_alu instid0(VALU_DEP_4)
	v_cmp_gt_i32_e32 vcc_lo, 1, v82
	s_or_b32 s22, vcc_lo, s22
	s_waitcnt vmcnt(0) lgkmcnt(0)
	v_dual_mul_f32 v84, v84, v86 :: v_dual_mul_f32 v85, v85, v87
	s_clause 0x1
	flat_store_b32 v[34:35], v84 glc slc dlc
	flat_store_b32 v[34:35], v85 offset:128 glc slc dlc
	v_add_co_u32 v34, s7, v34, v64
	s_delay_alu instid0(VALU_DEP_1)
	v_add_co_ci_u32_e64 v35, s7, v35, v65, s7
	s_and_not1_b32 exec_lo, exec_lo, s22
	s_cbranch_execnz .LBB2_358
; %bb.359:                              ;   in Loop: Header=BB2_260 Depth=1
	s_or_b32 exec_lo, exec_lo, s22
.LBB2_360:                              ;   in Loop: Header=BB2_260 Depth=1
	s_delay_alu instid0(SALU_CYCLE_1) | instskip(SKIP_1) | instid1(VALU_DEP_1)
	s_or_b32 exec_lo, exec_lo, s21
	v_lshlrev_b32_e32 v29, 8, v83
	v_cmp_ne_u32_e32 vcc_lo, v70, v29
	s_and_b32 exec_lo, exec_lo, vcc_lo
	s_cbranch_execz .LBB2_365
; %bb.361:                              ;   in Loop: Header=BB2_260 Depth=1
	v_lshlrev_b32_e32 v30, 5, v81
	v_lshlrev_b32_e32 v32, 5, v82
	s_delay_alu instid0(VALU_DEP_2) | instskip(NEXT) | instid1(VALU_DEP_1)
	v_sub_nc_u32_e32 v30, v80, v30
	v_sub_nc_u32_e32 v30, v30, v32
	s_delay_alu instid0(VALU_DEP_1) | instskip(NEXT) | instid1(VALU_DEP_1)
	v_ashrrev_i32_e32 v32, 31, v30
	v_lshrrev_b32_e32 v32, 27, v32
	s_delay_alu instid0(VALU_DEP_1) | instskip(NEXT) | instid1(VALU_DEP_1)
	v_add_nc_u32_e32 v32, v30, v32
	v_and_b32_e32 v33, 0x3fffffe0, v32
	v_lshlrev_b32_e32 v32, 2, v32
	s_delay_alu instid0(VALU_DEP_2) | instskip(NEXT) | instid1(VALU_DEP_2)
	v_sub_nc_u32_e32 v30, v30, v33
	v_and_b32_e32 v32, 0xffffff80, v32
	s_delay_alu instid0(VALU_DEP_2) | instskip(NEXT) | instid1(VALU_DEP_1)
	v_lshlrev_b32_e32 v30, 2, v30
	v_add3_u32 v29, v32, v30, v29
	s_delay_alu instid0(VALU_DEP_1) | instskip(NEXT) | instid1(VALU_DEP_1)
	v_sub_nc_u32_e32 v70, v70, v29
	v_cmp_lt_i32_e32 vcc_lo, 3, v70
	s_and_b32 exec_lo, exec_lo, vcc_lo
	s_cbranch_execz .LBB2_365
; %bb.362:                              ;   in Loop: Header=BB2_260 Depth=1
	s_cbranch_execnz .LBB2_898
; %bb.363:                              ;   in Loop: Header=BB2_260 Depth=1
	ds_load_b128 v[32:35], v0
	ds_load_b64 v[80:81], v0
	v_add_nc_u32_e32 v71, v29, v71
	s_mov_b32 s21, 0
	s_delay_alu instid0(VALU_DEP_1) | instskip(SKIP_2) | instid1(VALU_DEP_2)
	v_ashrrev_i32_e32 v82, 31, v71
	s_waitcnt lgkmcnt(1)
	v_add_co_u32 v29, vcc_lo, v32, v71
	v_add_co_ci_u32_e32 v30, vcc_lo, v33, v82, vcc_lo
	v_add_co_u32 v32, vcc_lo, v34, v71
	v_add_co_ci_u32_e32 v33, vcc_lo, v35, v82, vcc_lo
	s_waitcnt lgkmcnt(0)
	v_add_co_u32 v34, vcc_lo, v80, v71
	v_add_co_ci_u32_e32 v35, vcc_lo, v81, v82, vcc_lo
.LBB2_364:                              ;   Parent Loop BB2_260 Depth=1
                                        ; =>  This Inner Loop Header: Depth=2
	flat_load_b32 v71, v[29:30] slc dlc
	flat_load_b32 v80, v[32:33] slc dlc
	v_add_co_u32 v29, vcc_lo, v29, v66
	v_sub_nc_u32_e32 v70, v70, v52
	v_add_co_ci_u32_e32 v30, vcc_lo, v30, v67, vcc_lo
	v_add_co_u32 v32, vcc_lo, v32, v66
	v_add_co_ci_u32_e32 v33, vcc_lo, v33, v67, vcc_lo
	s_delay_alu instid0(VALU_DEP_4)
	v_cmp_gt_i32_e32 vcc_lo, 4, v70
	s_or_b32 s21, vcc_lo, s21
	s_waitcnt vmcnt(0) lgkmcnt(0)
	v_mul_f32_e32 v71, v71, v80
	flat_store_b32 v[34:35], v71 glc slc dlc
	v_add_co_u32 v34, s7, v34, v66
	s_delay_alu instid0(VALU_DEP_1)
	v_add_co_ci_u32_e64 v35, s7, v35, v67, s7
	s_and_not1_b32 exec_lo, exec_lo, s21
	s_cbranch_execnz .LBB2_364
.LBB2_365:                              ;   in Loop: Header=BB2_260 Depth=1
	s_or_b32 exec_lo, exec_lo, s10
	v_cmp_ne_u32_e64 s7, 0, v22
.LBB2_366:                              ;   in Loop: Header=BB2_260 Depth=1
	s_and_saveexec_b32 s10, s2
	s_cbranch_execz .LBB2_388
; %bb.367:                              ;   in Loop: Header=BB2_260 Depth=1
	s_and_saveexec_b32 s21, s3
	s_delay_alu instid0(SALU_CYCLE_1)
	s_xor_b32 s21, exec_lo, s21
	s_cbranch_execz .LBB2_385
; %bb.368:                              ;   in Loop: Header=BB2_260 Depth=1
	s_and_saveexec_b32 s22, s4
	s_cbranch_execz .LBB2_384
; %bb.369:                              ;   in Loop: Header=BB2_260 Depth=1
	s_mov_b32 s24, exec_lo
	s_mov_b32 s23, exec_lo
	v_mbcnt_lo_u32_b32 v22, s24, 0
	s_waitcnt lgkmcnt(0)
	s_waitcnt_vscnt null, 0x0
	buffer_gl1_inv
	buffer_gl0_inv
	v_cmpx_eq_u32_e32 0, v22
	s_cbranch_execz .LBB2_371
; %bb.370:                              ;   in Loop: Header=BB2_260 Depth=1
	s_bcnt1_i32_b32 s24, s24
	s_delay_alu instid0(SALU_CYCLE_1)
	v_mov_b32_e32 v22, s24
	ds_add_u64 v0, v[22:23]
	s_cbranch_execnz .LBB2_886
.LBB2_371:                              ;   in Loop: Header=BB2_260 Depth=1
	s_or_b32 exec_lo, exec_lo, s23
	s_cbranch_execnz .LBB2_864
; %bb.372:                              ;   in Loop: Header=BB2_260 Depth=1
	ds_load_b64 v[29:30], v0
	v_add_co_u32 v10, vcc_lo, v10, v36
	v_add_co_ci_u32_e32 v11, vcc_lo, 0, v11, vcc_lo
	s_mov_b32 s23, exec_lo
	s_waitcnt lgkmcnt(0)
	s_delay_alu instid0(VALU_DEP_1)
	v_cmpx_lt_u64_e64 v[29:30], v[10:11]
	s_cbranch_execz .LBB2_383
; %bb.373:                              ;   in Loop: Header=BB2_260 Depth=1
	s_mov_b32 s24, 0
	s_mov_b32 s27, 0
                                        ; implicit-def: $sgpr25
                                        ; implicit-def: $sgpr26
	s_branch .LBB2_375
.LBB2_374:                              ;   in Loop: Header=BB2_375 Depth=2
	s_or_b32 exec_lo, exec_lo, vcc_hi
	s_delay_alu instid0(SALU_CYCLE_1) | instskip(NEXT) | instid1(SALU_CYCLE_1)
	s_and_b32 s28, exec_lo, s29
	s_or_b32 s24, s28, s24
	s_and_not1_b32 s25, s25, exec_lo
	s_and_b32 s28, s26, exec_lo
	s_delay_alu instid0(SALU_CYCLE_1)
	s_or_b32 s25, s25, s28
	s_and_not1_b32 exec_lo, exec_lo, s24
	s_cbranch_execz .LBB2_381
.LBB2_375:                              ;   Parent Loop BB2_260 Depth=1
                                        ; =>  This Inner Loop Header: Depth=2
	s_add_i32 s27, s27, 1
                                        ; implicit-def: $sgpr29
	s_delay_alu instid0(SALU_CYCLE_1) | instskip(SKIP_1) | instid1(SALU_CYCLE_1)
	s_cmpk_lg_i32 s27, 0x2710
	s_cselect_b32 s28, -1, 0
	s_and_b32 vcc_lo, exec_lo, s28
	s_cbranch_vccz .LBB2_379
.LBB2_376:                              ;   in Loop: Header=BB2_375 Depth=2
	s_and_not1_b32 s26, s26, exec_lo
	s_and_b32 vcc_lo, s29, exec_lo
	s_mov_b32 s29, -1
	s_or_b32 s26, s26, vcc_lo
	s_and_saveexec_b32 vcc_hi, s28
	s_cbranch_execz .LBB2_374
; %bb.377:                              ;   in Loop: Header=BB2_375 Depth=2
	s_sleep 1
	s_cbranch_execnz .LBB2_908
; %bb.378:                              ;   in Loop: Header=BB2_375 Depth=2
	ds_load_b64 v[29:30], v0
	s_and_not1_b32 s26, s26, exec_lo
	s_waitcnt lgkmcnt(0)
	v_cmp_ge_u64_e32 vcc_lo, v[29:30], v[10:11]
	s_or_not1_b32 s29, vcc_lo, exec_lo
	s_branch .LBB2_374
.LBB2_379:                              ;   in Loop: Header=BB2_375 Depth=2
	s_cbranch_execnz .LBB2_914
; %bb.380:                              ;   in Loop: Header=BB2_375 Depth=2
	ds_load_b64 v[29:30], v0
	s_and_not1_b32 s28, s28, exec_lo
	s_mov_b32 s27, 0
	s_mov_b32 s29, -1
	s_waitcnt lgkmcnt(0)
	flat_load_b32 v22, v[29:30] glc
	s_waitcnt vmcnt(0) lgkmcnt(0)
	buffer_gl1_inv
	buffer_gl0_inv
	v_cmp_eq_u32_e32 vcc_lo, 0, v22
	s_and_b32 vcc_lo, vcc_lo, exec_lo
	s_delay_alu instid0(SALU_CYCLE_1)
	s_or_b32 s28, s28, vcc_lo
	s_branch .LBB2_376
.LBB2_381:                              ;   in Loop: Header=BB2_260 Depth=1
	s_or_b32 exec_lo, exec_lo, s24
	s_and_saveexec_b32 s24, s25
	s_delay_alu instid0(SALU_CYCLE_1)
	s_xor_b32 s24, exec_lo, s24
	s_cbranch_execz .LBB2_383
; %bb.382:                              ;   in Loop: Header=BB2_260 Depth=1
	ds_store_b32 v0, v68
	s_cbranch_execnz .LBB2_938
.LBB2_383:                              ;   in Loop: Header=BB2_260 Depth=1
	s_or_b32 exec_lo, exec_lo, s23
	;;#ASMSTART
	s_wakeup
	;;#ASMEND
.LBB2_384:                              ;   in Loop: Header=BB2_260 Depth=1
	s_or_b32 exec_lo, exec_lo, s22
.LBB2_385:                              ;   in Loop: Header=BB2_260 Depth=1
	s_and_not1_saveexec_b32 s21, s21
	s_cbranch_execz .LBB2_387
; %bb.386:                              ;   in Loop: Header=BB2_260 Depth=1
	s_waitcnt lgkmcnt(0)
	s_waitcnt_vscnt null, 0x0
	buffer_gl1_inv
	buffer_gl0_inv
	s_barrier
.LBB2_387:                              ;   in Loop: Header=BB2_260 Depth=1
	s_or_b32 exec_lo, exec_lo, s21
.LBB2_388:                              ;   in Loop: Header=BB2_260 Depth=1
	s_delay_alu instid0(SALU_CYCLE_1) | instskip(SKIP_1) | instid1(VALU_DEP_1)
	s_or_b32 exec_lo, exec_lo, s10
	v_and_b32_e32 v22, 16, v48
	v_cmp_ne_u32_e32 vcc_lo, 0, v22
	s_and_b32 s10, vcc_lo, s7
	s_delay_alu instid0(SALU_CYCLE_1)
	s_and_saveexec_b32 s7, s10
	s_cbranch_execz .LBB2_390
; %bb.389:                              ;   in Loop: Header=BB2_260 Depth=1
	s_waitcnt lgkmcnt(0)
	s_waitcnt_vscnt null, 0x0
	buffer_gl1_inv
	buffer_gl0_inv
.LBB2_390:                              ;   in Loop: Header=BB2_260 Depth=1
	s_or_b32 exec_lo, exec_lo, s7
	v_and_b32_e32 v22, 32, v48
	s_mov_b32 s7, exec_lo
	s_delay_alu instid0(VALU_DEP_1)
	v_cmpx_ne_u32_e32 0, v22
	s_cbranch_execz .LBB2_392
; %bb.391:                              ;   in Loop: Header=BB2_260 Depth=1
	v_add_co_u32 v8, vcc_lo, v8, 1
	v_add_co_ci_u32_e32 v9, vcc_lo, 0, v9, vcc_lo
	s_waitcnt lgkmcnt(0)
	s_waitcnt_vscnt null, 0x0
	flat_store_b64 v[16:17], v[8:9]
.LBB2_392:                              ;   in Loop: Header=BB2_260 Depth=1
	s_or_b32 exec_lo, exec_lo, s7
	v_mov_b32_e32 v34, v69
.LBB2_393:                              ;   in Loop: Header=BB2_260 Depth=1
	s_or_b32 exec_lo, exec_lo, s20
	s_and_saveexec_b32 s10, s19
	s_cbranch_execz .LBB2_446
; %bb.394:                              ;   in Loop: Header=BB2_260 Depth=1
	v_and_b32_e32 v22, 4, v48
	s_mov_b32 s19, -1
	s_mov_b32 s7, exec_lo
	s_delay_alu instid0(VALU_DEP_1)
	v_cmpx_ne_u32_e32 0, v22
	s_cbranch_execz .LBB2_408
; %bb.395:                              ;   in Loop: Header=BB2_260 Depth=1
	v_add_co_u32 v29, vcc_lo, v8, 1
	v_add_co_ci_u32_e32 v30, vcc_lo, 0, v9, vcc_lo
	v_mov_b32_e32 v22, 1
	s_mov_b32 s19, exec_lo
	s_delay_alu instid0(VALU_DEP_2)
	v_cmpx_lt_u64_e64 v[20:21], v[29:30]
	s_cbranch_execz .LBB2_407
; %bb.396:                              ;   in Loop: Header=BB2_260 Depth=1
	v_mov_b32_e32 v22, 0
	s_mov_b32 s20, 0
                                        ; implicit-def: $sgpr21
	s_branch .LBB2_400
.LBB2_397:                              ;   in Loop: Header=BB2_400 Depth=2
	s_or_b32 exec_lo, exec_lo, s25
	v_mov_b32_e32 v32, 0
	s_or_not1_b32 s24, s24, exec_lo
.LBB2_398:                              ;   in Loop: Header=BB2_400 Depth=2
	s_or_b32 exec_lo, exec_lo, s23
	s_delay_alu instid0(VALU_DEP_1) | instskip(SKIP_2) | instid1(SALU_CYCLE_1)
	v_mov_b32_e32 v22, v32
	s_and_not1_b32 s21, s21, exec_lo
	s_and_b32 s23, s24, exec_lo
	s_or_b32 s21, s21, s23
.LBB2_399:                              ;   in Loop: Header=BB2_400 Depth=2
	s_or_b32 exec_lo, exec_lo, s22
	s_waitcnt vmcnt(0) lgkmcnt(0)
	v_cmp_ge_u64_e32 vcc_lo, v[20:21], v[29:30]
	s_xor_b32 s22, s21, -1
	s_delay_alu instid0(SALU_CYCLE_1) | instskip(NEXT) | instid1(SALU_CYCLE_1)
	s_or_b32 s22, s22, vcc_lo
	s_and_b32 s22, exec_lo, s22
	s_delay_alu instid0(SALU_CYCLE_1) | instskip(NEXT) | instid1(SALU_CYCLE_1)
	s_or_b32 s20, s22, s20
	s_and_not1_b32 exec_lo, exec_lo, s20
	s_cbranch_execz .LBB2_406
.LBB2_400:                              ;   Parent Loop BB2_260 Depth=1
                                        ; =>  This Inner Loop Header: Depth=2
	s_sleep 1
	flat_load_b64 v[20:21], v[16:17] glc
	v_and_b32_e32 v32, 64, v48
	s_and_not1_b32 s21, s21, exec_lo
	s_mov_b32 s22, exec_lo
	s_delay_alu instid0(VALU_DEP_1)
	v_cmpx_eq_u32_e32 0, v32
	s_cbranch_execz .LBB2_399
; %bb.401:                              ;   in Loop: Header=BB2_400 Depth=2
	v_add_nc_u32_e32 v32, 1, v22
	s_mov_b32 s24, -1
	s_mov_b32 s23, exec_lo
	v_cmpx_lt_i32_e32 0x270e, v22
	s_cbranch_execz .LBB2_398
; %bb.402:                              ;   in Loop: Header=BB2_400 Depth=2
	s_cbranch_execnz .LBB2_768
; %bb.403:                              ;   in Loop: Header=BB2_400 Depth=2
	ds_load_b64 v[32:33], v0
	s_mov_b32 s25, exec_lo
	s_waitcnt vmcnt(0) lgkmcnt(0)
	s_waitcnt_vscnt null, 0x0
	flat_load_b32 v22, v[32:33] glc
	s_waitcnt vmcnt(0) lgkmcnt(0)
	buffer_gl1_inv
	buffer_gl0_inv
	v_cmpx_ne_u32_e32 0, v22
	s_cbranch_execz .LBB2_397
; %bb.404:                              ;   in Loop: Header=BB2_400 Depth=2
	ds_store_b32 v0, v22
	s_cbranch_execnz .LBB2_798
; %bb.405:                              ;   in Loop: Header=BB2_400 Depth=2
	v_or_b32_e32 v48, 64, v48
	s_xor_b32 s24, exec_lo, -1
	s_branch .LBB2_397
.LBB2_406:                              ;   in Loop: Header=BB2_260 Depth=1
	s_or_b32 exec_lo, exec_lo, s20
	v_and_b32_e32 v22, 4, v48
.LBB2_407:                              ;   in Loop: Header=BB2_260 Depth=1
	s_or_b32 exec_lo, exec_lo, s19
	s_delay_alu instid0(VALU_DEP_1)
	v_cmp_eq_u32_e32 vcc_lo, 0, v22
	;;#ASMSTART
	s_wakeup
	;;#ASMEND
	s_or_not1_b32 s19, vcc_lo, exec_lo
.LBB2_408:                              ;   in Loop: Header=BB2_260 Depth=1
	s_or_b32 exec_lo, exec_lo, s7
	s_xor_b32 s7, s19, -1
	s_delay_alu instid0(SALU_CYCLE_1)
	s_and_saveexec_b32 s19, s7
	s_cbranch_execz .LBB2_418
; %bb.409:                              ;   in Loop: Header=BB2_260 Depth=1
	v_and_b32_e32 v22, 0x100, v48
	s_mov_b32 s7, -1
                                        ; implicit-def: $vgpr29_vgpr30
	s_delay_alu instid0(VALU_DEP_1)
	v_cmp_ne_u32_e32 vcc_lo, 0, v22
	v_and_b32_e32 v22, 7, v8
	s_and_saveexec_b32 s20, vcc_lo
	s_cbranch_execz .LBB2_413
; %bb.410:                              ;   in Loop: Header=BB2_260 Depth=1
	s_delay_alu instid0(VALU_DEP_1) | instskip(SKIP_4) | instid1(VALU_DEP_1)
	v_mad_u64_u32 v[32:33], null, v22, 24, v[6:7]
	flat_load_b32 v29, v[32:33]
	s_waitcnt vmcnt(0) lgkmcnt(0)
	v_cmp_ne_u32_e32 vcc_lo, 1, v29
	v_cmp_eq_u32_e64 s7, 1, v29
                                        ; implicit-def: $vgpr29_vgpr30
	s_and_saveexec_b32 s21, s7
	s_cbranch_execz .LBB2_412
; %bb.411:                              ;   in Loop: Header=BB2_260 Depth=1
	flat_load_b32 v29, v[32:33] offset:4 glc
	s_waitcnt vmcnt(0) lgkmcnt(0)
	v_ashrrev_i32_e32 v30, 31, v29
	s_delay_alu instid0(VALU_DEP_1)
	v_lshrrev_b64 v[29:30], 2, v[29:30]
.LBB2_412:                              ;   in Loop: Header=BB2_260 Depth=1
	s_or_b32 exec_lo, exec_lo, s21
	s_delay_alu instid0(SALU_CYCLE_1)
	s_or_not1_b32 s7, vcc_lo, exec_lo
.LBB2_413:                              ;   in Loop: Header=BB2_260 Depth=1
	s_or_b32 exec_lo, exec_lo, s20
	s_and_saveexec_b32 s20, s7
; %bb.414:                              ;   in Loop: Header=BB2_260 Depth=1
	v_mad_i64_i32 v[29:30], null, v22, v50, 0
; %bb.415:                              ;   in Loop: Header=BB2_260 Depth=1
	s_or_b32 exec_lo, exec_lo, s20
	s_delay_alu instid0(VALU_DEP_1) | instskip(SKIP_2) | instid1(VALU_DEP_2)
	v_lshlrev_b64 v[29:30], 2, v[29:30]
	v_and_b32_e32 v22, 0x2000, v48
	s_mov_b32 s7, exec_lo
	v_add_co_u32 v29, vcc_lo, v18, v29
	s_delay_alu instid0(VALU_DEP_3)
	v_add_co_ci_u32_e32 v30, vcc_lo, v19, v30, vcc_lo
	ds_store_b64 v0, v[29:30] offset:728
	v_cmpx_ne_u32_e32 0, v22
	s_cbranch_execz .LBB2_417
; %bb.416:                              ;   in Loop: Header=BB2_260 Depth=1
	ds_load_b64 v[29:30], v0 offset:584
	s_waitcnt lgkmcnt(0)
	v_add_co_u32 v29, vcc_lo, v29, 1
	v_add_co_ci_u32_e32 v30, vcc_lo, 0, v30, vcc_lo
	ds_store_b64 v0, v[29:30] offset:584
.LBB2_417:                              ;   in Loop: Header=BB2_260 Depth=1
	s_or_b32 exec_lo, exec_lo, s7
	v_add_co_u32 v8, vcc_lo, v8, 1
	v_add_co_ci_u32_e32 v9, vcc_lo, 0, v9, vcc_lo
.LBB2_418:                              ;   in Loop: Header=BB2_260 Depth=1
	s_or_b32 exec_lo, exec_lo, s19
	s_and_saveexec_b32 s7, s2
	s_cbranch_execz .LBB2_440
; %bb.419:                              ;   in Loop: Header=BB2_260 Depth=1
	s_and_saveexec_b32 s19, s3
	s_delay_alu instid0(SALU_CYCLE_1)
	s_xor_b32 s19, exec_lo, s19
	s_cbranch_execz .LBB2_437
; %bb.420:                              ;   in Loop: Header=BB2_260 Depth=1
	s_and_saveexec_b32 s20, s4
	s_cbranch_execz .LBB2_436
; %bb.421:                              ;   in Loop: Header=BB2_260 Depth=1
	s_mov_b32 s22, exec_lo
	s_mov_b32 s21, exec_lo
	v_mbcnt_lo_u32_b32 v22, s22, 0
	s_waitcnt lgkmcnt(0)
	s_waitcnt_vscnt null, 0x0
	buffer_gl1_inv
	buffer_gl0_inv
	v_cmpx_eq_u32_e32 0, v22
	s_cbranch_execz .LBB2_423
; %bb.422:                              ;   in Loop: Header=BB2_260 Depth=1
	s_bcnt1_i32_b32 s22, s22
	s_delay_alu instid0(SALU_CYCLE_1)
	v_mov_b32_e32 v22, s22
	ds_add_u64 v0, v[22:23]
	s_cbranch_execnz .LBB2_814
.LBB2_423:                              ;   in Loop: Header=BB2_260 Depth=1
	s_or_b32 exec_lo, exec_lo, s21
	s_cbranch_execnz .LBB2_800
; %bb.424:                              ;   in Loop: Header=BB2_260 Depth=1
	ds_load_b64 v[29:30], v0
	v_add_co_u32 v10, vcc_lo, v10, v36
	v_add_co_ci_u32_e32 v11, vcc_lo, 0, v11, vcc_lo
	s_mov_b32 s21, exec_lo
	s_waitcnt lgkmcnt(0)
	s_delay_alu instid0(VALU_DEP_1)
	v_cmpx_lt_u64_e64 v[29:30], v[10:11]
	s_cbranch_execz .LBB2_435
; %bb.425:                              ;   in Loop: Header=BB2_260 Depth=1
	s_mov_b32 s22, 0
	s_mov_b32 s25, 0
                                        ; implicit-def: $sgpr23
                                        ; implicit-def: $sgpr24
	s_branch .LBB2_427
.LBB2_426:                              ;   in Loop: Header=BB2_427 Depth=2
	s_or_b32 exec_lo, exec_lo, s28
	s_delay_alu instid0(SALU_CYCLE_1) | instskip(NEXT) | instid1(SALU_CYCLE_1)
	s_and_b32 s26, exec_lo, s27
	s_or_b32 s22, s26, s22
	s_and_not1_b32 s23, s23, exec_lo
	s_and_b32 s26, s24, exec_lo
	s_delay_alu instid0(SALU_CYCLE_1)
	s_or_b32 s23, s23, s26
	s_and_not1_b32 exec_lo, exec_lo, s22
	s_cbranch_execz .LBB2_433
.LBB2_427:                              ;   Parent Loop BB2_260 Depth=1
                                        ; =>  This Inner Loop Header: Depth=2
	s_add_i32 s25, s25, 1
                                        ; implicit-def: $sgpr27
	s_delay_alu instid0(SALU_CYCLE_1) | instskip(SKIP_1) | instid1(SALU_CYCLE_1)
	s_cmpk_lg_i32 s25, 0x2710
	s_cselect_b32 s26, -1, 0
	s_and_b32 vcc_lo, exec_lo, s26
	s_cbranch_vccz .LBB2_431
.LBB2_428:                              ;   in Loop: Header=BB2_427 Depth=2
	s_and_not1_b32 s24, s24, exec_lo
	s_and_b32 s28, s27, exec_lo
	s_mov_b32 s27, -1
	s_or_b32 s24, s24, s28
	s_and_saveexec_b32 s28, s26
	s_cbranch_execz .LBB2_426
; %bb.429:                              ;   in Loop: Header=BB2_427 Depth=2
	s_sleep 1
	s_cbranch_execnz .LBB2_858
; %bb.430:                              ;   in Loop: Header=BB2_427 Depth=2
	ds_load_b64 v[29:30], v0
	s_and_not1_b32 s24, s24, exec_lo
	s_waitcnt lgkmcnt(0)
	v_cmp_ge_u64_e32 vcc_lo, v[29:30], v[10:11]
	s_or_not1_b32 s27, vcc_lo, exec_lo
	s_branch .LBB2_426
.LBB2_431:                              ;   in Loop: Header=BB2_427 Depth=2
	s_cbranch_execnz .LBB2_880
; %bb.432:                              ;   in Loop: Header=BB2_427 Depth=2
	ds_load_b64 v[29:30], v0
	s_and_not1_b32 s26, s26, exec_lo
	s_mov_b32 s25, 0
	s_mov_b32 s27, -1
	s_waitcnt lgkmcnt(0)
	flat_load_b32 v22, v[29:30] glc
	s_waitcnt vmcnt(0) lgkmcnt(0)
	buffer_gl1_inv
	buffer_gl0_inv
	v_cmp_eq_u32_e32 vcc_lo, 0, v22
	s_and_b32 s28, vcc_lo, exec_lo
	s_delay_alu instid0(SALU_CYCLE_1)
	s_or_b32 s26, s26, s28
	s_branch .LBB2_428
.LBB2_433:                              ;   in Loop: Header=BB2_260 Depth=1
	s_or_b32 exec_lo, exec_lo, s22
	s_and_saveexec_b32 s22, s23
	s_delay_alu instid0(SALU_CYCLE_1)
	s_xor_b32 s22, exec_lo, s22
	s_cbranch_execz .LBB2_435
; %bb.434:                              ;   in Loop: Header=BB2_260 Depth=1
	ds_store_b32 v0, v68
	s_cbranch_execnz .LBB2_928
.LBB2_435:                              ;   in Loop: Header=BB2_260 Depth=1
	s_or_b32 exec_lo, exec_lo, s21
	;;#ASMSTART
	s_wakeup
	;;#ASMEND
.LBB2_436:                              ;   in Loop: Header=BB2_260 Depth=1
	s_or_b32 exec_lo, exec_lo, s20
.LBB2_437:                              ;   in Loop: Header=BB2_260 Depth=1
	s_and_not1_saveexec_b32 s19, s19
	s_cbranch_execz .LBB2_439
; %bb.438:                              ;   in Loop: Header=BB2_260 Depth=1
	s_waitcnt lgkmcnt(0)
	s_waitcnt_vscnt null, 0x0
	buffer_gl1_inv
	buffer_gl0_inv
	s_barrier
.LBB2_439:                              ;   in Loop: Header=BB2_260 Depth=1
	s_or_b32 exec_lo, exec_lo, s19
.LBB2_440:                              ;   in Loop: Header=BB2_260 Depth=1
	s_delay_alu instid0(SALU_CYCLE_1)
	s_or_b32 exec_lo, exec_lo, s7
	s_cbranch_execnz .LBB2_739
; %bb.441:                              ;   in Loop: Header=BB2_260 Depth=1
	ds_load_b32 v22, v0
	v_sub_nc_u32_e32 v28, v28, v34
	s_delay_alu instid0(VALU_DEP_1) | instskip(NEXT) | instid1(VALU_DEP_1)
	v_min_i32_e32 v28, v69, v28
	v_cmp_lt_i32_e32 vcc_lo, 0, v28
	s_waitcnt lgkmcnt(0)
	v_readfirstlane_b32 s7, v22
	v_and_b32_e32 v22, 16, v48
	s_delay_alu instid0(VALU_DEP_2) | instskip(NEXT) | instid1(VALU_DEP_1)
	s_cmp_eq_u32 s7, 0
	v_cmp_ne_u32_e64 s7, 0, v22
	s_cselect_b32 s19, -1, 0
	s_delay_alu instid0(SALU_CYCLE_1)
	s_and_b32 s19, vcc_lo, s19
	s_delay_alu instid0(VALU_DEP_1) | instid1(SALU_CYCLE_1)
	s_and_b32 s19, s7, s19
	s_delay_alu instid0(SALU_CYCLE_1)
	s_and_saveexec_b32 s7, s19
	s_cbranch_execz .LBB2_443
; %bb.442:                              ;   in Loop: Header=BB2_260 Depth=1
	s_waitcnt_vscnt null, 0x0
	buffer_gl1_inv
	buffer_gl0_inv
.LBB2_443:                              ;   in Loop: Header=BB2_260 Depth=1
	s_or_b32 exec_lo, exec_lo, s7
	v_and_b32_e32 v22, 32, v48
	s_mov_b32 s7, exec_lo
	s_delay_alu instid0(VALU_DEP_1)
	v_cmpx_ne_u32_e32 0, v22
	s_cbranch_execz .LBB2_445
; %bb.444:                              ;   in Loop: Header=BB2_260 Depth=1
	v_add_co_u32 v8, vcc_lo, v8, 1
	v_add_co_ci_u32_e32 v9, vcc_lo, 0, v9, vcc_lo
	s_waitcnt_vscnt null, 0x0
	flat_store_b64 v[16:17], v[8:9]
.LBB2_445:                              ;   in Loop: Header=BB2_260 Depth=1
	s_or_b32 exec_lo, exec_lo, s7
.LBB2_446:                              ;   in Loop: Header=BB2_260 Depth=1
	s_delay_alu instid0(SALU_CYCLE_1) | instskip(SKIP_2) | instid1(VALU_DEP_1)
	s_or_b32 exec_lo, exec_lo, s10
	v_add_co_u32 v26, vcc_lo, v26, v12
	v_add_co_ci_u32_e32 v27, vcc_lo, 0, v27, vcc_lo
	v_cmp_ge_u64_e32 vcc_lo, v[26:27], v[4:5]
	s_or_b32 s16, vcc_lo, s16
	s_delay_alu instid0(SALU_CYCLE_1)
	s_and_not1_b32 exec_lo, exec_lo, s16
	s_cbranch_execnz .LBB2_260
; %bb.447:
	s_or_b32 exec_lo, exec_lo, s16
.LBB2_448:
	s_delay_alu instid0(SALU_CYCLE_1)
	s_or_b32 exec_lo, exec_lo, s12
.LBB2_449:
	s_delay_alu instid0(SALU_CYCLE_1)
	s_or_b32 exec_lo, exec_lo, s11
                                        ; implicit-def: $vgpr24_vgpr25
                                        ; implicit-def: $vgpr4_vgpr5
                                        ; implicit-def: $vgpr22_vgpr23
                                        ; implicit-def: $vgpr50
                                        ; implicit-def: $vgpr20_vgpr21
                                        ; implicit-def: $vgpr18_vgpr19
                                        ; implicit-def: $vgpr16_vgpr17
                                        ; implicit-def: $vgpr0
                                        ; implicit-def: $vgpr30
                                        ; implicit-def: $vgpr12_vgpr13
.LBB2_450:
	s_and_not1_saveexec_b32 s12, s15
	s_cbranch_execz .LBB2_651
; %bb.451:
	v_mov_b32_e32 v10, 0
	v_mov_b32_e32 v11, 0
	s_mov_b32 s15, exec_lo
	v_cmpx_ne_u64_e32 0, v[4:5]
	s_cbranch_execz .LBB2_650
; %bb.452:
	v_cmp_ge_i32_e64 s1, v0, v1
	s_cbranch_execnz .LBB2_680
; %bb.453:
	v_ashrrev_i32_e32 v10, 31, v0
	v_lshrrev_b32_e32 v52, 5, v1
	v_dual_mov_b32 v26, 0 :: v_dual_and_b32 v11, 31, v31
	s_lshr_b32 s4, s14, 27
	s_delay_alu instid0(VALU_DEP_3) | instskip(NEXT) | instid1(VALU_DEP_3)
	v_lshrrev_b32_e32 v10, 27, v10
	v_dual_mov_b32 v81, 1 :: v_dual_lshlrev_b32 v54, 9, v52
	s_add_i32 s14, s14, s4
	v_cmp_eq_u32_e64 s4, 0, v11
	s_delay_alu instid0(VALU_DEP_3) | instskip(NEXT) | instid1(VALU_DEP_3)
	v_add_nc_u32_e32 v10, v0, v10
	v_add_nc_u32_e32 v29, 0xfffffe00, v54
	v_lshl_add_u32 v11, v52, 8, 0xffffff00
	v_cmp_eq_u32_e32 vcc_lo, 32, v1
	v_ashrrev_i32_e32 v51, 31, v50
	v_and_b32_e32 v27, 0xffffffe0, v10
	v_ashrrev_i32_e32 v53, 5, v10
	v_lshl_add_u32 v10, v52, 10, 0xfffffc00
	v_add_co_u32 v67, s7, 0x200, v29
	s_delay_alu instid0(VALU_DEP_4) | instskip(SKIP_1) | instid1(VALU_DEP_4)
	v_sub_nc_u32_e32 v55, v0, v27
	v_cmp_ne_u32_e64 s2, 32, v1
	v_ashrrev_i32_e32 v28, 31, v10
	v_add_co_u32 v64, s5, 0x400, v10
	v_ashrrev_i32_e32 v10, 31, v29
	v_cmp_lt_i32_e64 s6, v55, v30
	v_mov_b32_e32 v29, 0
	v_mov_b32_e32 v30, 0
	v_lshlrev_b32_e32 v66, 7, v52
	v_add_co_ci_u32_e64 v68, s7, 0, v10, s7
	v_ashrrev_i32_e32 v10, 31, v11
	v_add_co_u32 v69, s7, 0x100, v11
	s_delay_alu instid0(VALU_DEP_4) | instskip(SKIP_1) | instid1(VALU_DEP_4)
	v_add_nc_u32_e32 v32, 0xffffff80, v66
	v_lshlrev_b32_e32 v27, 10, v53
	v_add_co_ci_u32_e64 v70, s7, 0, v10, s7
	v_add_co_ci_u32_e64 v65, s5, 0, v28, s5
	s_delay_alu instid0(VALU_DEP_4) | instskip(SKIP_3) | instid1(VALU_DEP_4)
	v_ashrrev_i32_e32 v10, 31, v32
	v_add_co_u32 v71, s7, 0x80, v32
	v_lshlrev_b64 v[32:33], 2, v[24:25]
	v_cmp_ne_u32_e64 s3, v49, v1
	v_add_co_ci_u32_e64 v80, s7, 0, v10, s7
	v_mov_b32_e32 v10, v29
	v_lshl_add_u32 v27, v55, 4, v27
	s_waitcnt lgkmcnt(2)
	v_cmp_ne_u64_e64 s7, 0, v[22:23]
	v_cmp_gt_i32_e64 s5, 1, v55
	v_mov_b32_e32 v11, v30
	s_ashr_i32 s16, s14, 5
	v_ashrrev_i32_e32 v28, 31, v27
	s_mov_b32 s14, 0
	s_xor_b32 s17, vcc_lo, -1
.LBB2_454:                              ; =>This Loop Header: Depth=1
                                        ;     Child Loop BB2_464 Depth 2
                                        ;     Child Loop BB2_491 Depth 2
	;; [unrolled: 1-line block ×10, first 2 shown]
	v_sub_co_u32 v24, vcc_lo, v4, v29
	v_sub_co_ci_u32_e32 v25, vcc_lo, v5, v30, vcc_lo
	s_delay_alu instid0(VALU_DEP_1) | instskip(SKIP_2) | instid1(VALU_DEP_1)
	v_cmp_lt_u64_e32 vcc_lo, v[12:13], v[24:25]
	v_cndmask_b32_e64 v25, v25, 0, vcc_lo
	v_cndmask_b32_e32 v24, v24, v12, vcc_lo
	v_cmp_eq_u64_e32 vcc_lo, 0, v[24:25]
	s_waitcnt lgkmcnt(0)
	v_dual_mov_b32 v25, 0 :: v_dual_add_nc_u32 v34, 15, v24
	s_or_b32 s18, s1, vcc_lo
	s_delay_alu instid0(VALU_DEP_1) | instskip(SKIP_1) | instid1(VALU_DEP_1)
	v_and_b32_e32 v34, 0x1ffffff0, v34
	s_xor_b32 s10, s18, -1
	v_max_i32_e32 v38, s16, v34
	s_and_saveexec_b32 s19, s10
	s_cbranch_execz .LBB2_591
; %bb.455:                              ;   in Loop: Header=BB2_454 Depth=1
	s_and_saveexec_b32 s10, s0
	s_cbranch_execz .LBB2_458
; %bb.456:                              ;   in Loop: Header=BB2_454 Depth=1
	s_cbranch_execnz .LBB2_721
; %bb.457:                              ;   in Loop: Header=BB2_454 Depth=1
	ds_load_b64 v[34:35], v0
	v_lshlrev_b64 v[36:37], 2, v[29:30]
	s_waitcnt lgkmcnt(0)
	v_add_co_u32 v25, vcc_lo, v34, v32
	v_add_co_ci_u32_e32 v35, vcc_lo, v35, v33, vcc_lo
	s_delay_alu instid0(VALU_DEP_2) | instskip(NEXT) | instid1(VALU_DEP_2)
	v_add_co_u32 v34, vcc_lo, v25, v36
	v_add_co_ci_u32_e32 v35, vcc_lo, v35, v37, vcc_lo
	v_mov_b32_e32 v25, v26
	ds_store_b64 v0, v[34:35]
	ds_store_b64 v0, v[25:26]
.LBB2_458:                              ;   in Loop: Header=BB2_454 Depth=1
	s_or_b32 exec_lo, exec_lo, s10
	v_and_b32_e32 v25, 8, v48
	s_mov_b32 s11, -1
	s_mov_b32 s10, exec_lo
	s_delay_alu instid0(VALU_DEP_1)
	v_cmpx_ne_u32_e32 0, v25
	s_cbranch_execz .LBB2_472
; %bb.459:                              ;   in Loop: Header=BB2_454 Depth=1
	v_add_co_u32 v36, vcc_lo, v20, 8
	v_add_co_ci_u32_e32 v37, vcc_lo, 0, v21, vcc_lo
	v_add_co_u32 v34, vcc_lo, v8, 1
	v_add_co_ci_u32_e32 v35, vcc_lo, 0, v9, vcc_lo
	v_mov_b32_e32 v25, 1
	s_mov_b32 s11, exec_lo
	s_delay_alu instid0(VALU_DEP_2)
	v_cmpx_lt_u64_e64 v[36:37], v[34:35]
	s_cbranch_execz .LBB2_471
; %bb.460:                              ;   in Loop: Header=BB2_454 Depth=1
	v_mov_b32_e32 v25, 0
	s_mov_b32 s20, 0
                                        ; implicit-def: $sgpr21
	s_branch .LBB2_464
.LBB2_461:                              ;   in Loop: Header=BB2_464 Depth=2
	s_or_b32 exec_lo, exec_lo, s25
	v_mov_b32_e32 v36, 0
	s_or_not1_b32 s24, s24, exec_lo
.LBB2_462:                              ;   in Loop: Header=BB2_464 Depth=2
	s_or_b32 exec_lo, exec_lo, s23
	s_delay_alu instid0(VALU_DEP_1) | instskip(SKIP_2) | instid1(SALU_CYCLE_1)
	v_mov_b32_e32 v25, v36
	s_and_not1_b32 s21, s21, exec_lo
	s_and_b32 s23, s24, exec_lo
	s_or_b32 s21, s21, s23
.LBB2_463:                              ;   in Loop: Header=BB2_464 Depth=2
	s_or_b32 exec_lo, exec_lo, s22
	s_waitcnt vmcnt(0) lgkmcnt(0)
	v_add_co_u32 v36, vcc_lo, v20, 8
	v_add_co_ci_u32_e32 v37, vcc_lo, 0, v21, vcc_lo
	s_xor_b32 s22, s21, -1
	s_delay_alu instid0(VALU_DEP_1) | instskip(SKIP_1) | instid1(SALU_CYCLE_1)
	v_cmp_ge_u64_e32 vcc_lo, v[36:37], v[34:35]
	s_or_b32 s22, s22, vcc_lo
	s_and_b32 s22, exec_lo, s22
	s_delay_alu instid0(SALU_CYCLE_1) | instskip(NEXT) | instid1(SALU_CYCLE_1)
	s_or_b32 s20, s22, s20
	s_and_not1_b32 exec_lo, exec_lo, s20
	s_cbranch_execz .LBB2_470
.LBB2_464:                              ;   Parent Loop BB2_454 Depth=1
                                        ; =>  This Inner Loop Header: Depth=2
	s_sleep 1
	flat_load_b64 v[20:21], v[16:17] glc
	v_and_b32_e32 v36, 64, v48
	s_and_not1_b32 s21, s21, exec_lo
	s_mov_b32 s22, exec_lo
	s_delay_alu instid0(VALU_DEP_1)
	v_cmpx_eq_u32_e32 0, v36
	s_cbranch_execz .LBB2_463
; %bb.465:                              ;   in Loop: Header=BB2_464 Depth=2
	v_add_nc_u32_e32 v36, 1, v25
	s_mov_b32 s24, -1
	s_mov_b32 s23, exec_lo
	v_cmpx_lt_i32_e32 0x270e, v25
	s_cbranch_execz .LBB2_462
; %bb.466:                              ;   in Loop: Header=BB2_464 Depth=2
	s_cbranch_execnz .LBB2_727
; %bb.467:                              ;   in Loop: Header=BB2_464 Depth=2
	ds_load_b64 v[36:37], v0
	s_mov_b32 s25, exec_lo
	s_waitcnt vmcnt(0) lgkmcnt(0)
	s_waitcnt_vscnt null, 0x0
	flat_load_b32 v25, v[36:37] glc
	s_waitcnt vmcnt(0) lgkmcnt(0)
	buffer_gl1_inv
	buffer_gl0_inv
	v_cmpx_ne_u32_e32 0, v25
	s_cbranch_execz .LBB2_461
; %bb.468:                              ;   in Loop: Header=BB2_464 Depth=2
	ds_store_b32 v0, v25
	s_cbranch_execnz .LBB2_770
; %bb.469:                              ;   in Loop: Header=BB2_464 Depth=2
	v_or_b32_e32 v48, 64, v48
	s_xor_b32 s24, exec_lo, -1
	s_branch .LBB2_461
.LBB2_470:                              ;   in Loop: Header=BB2_454 Depth=1
	s_or_b32 exec_lo, exec_lo, s20
	v_and_b32_e32 v25, 8, v48
.LBB2_471:                              ;   in Loop: Header=BB2_454 Depth=1
	s_or_b32 exec_lo, exec_lo, s11
	s_delay_alu instid0(VALU_DEP_1)
	v_cmp_eq_u32_e32 vcc_lo, 0, v25
	;;#ASMSTART
	s_wakeup
	;;#ASMEND
	s_or_not1_b32 s11, vcc_lo, exec_lo
.LBB2_472:                              ;   in Loop: Header=BB2_454 Depth=1
	s_or_b32 exec_lo, exec_lo, s10
	v_min_u32_e32 v38, v38, v24
	s_xor_b32 s10, s11, -1
	s_delay_alu instid0(SALU_CYCLE_1)
	s_and_saveexec_b32 s11, s10
	s_cbranch_execz .LBB2_482
; %bb.473:                              ;   in Loop: Header=BB2_454 Depth=1
	v_and_b32_e32 v25, 0x100, v48
	v_and_b32_e32 v39, 7, v8
	s_mov_b32 s10, -1
	s_mov_b32 s20, exec_lo
                                        ; implicit-def: $vgpr34_vgpr35
	s_delay_alu instid0(VALU_DEP_2)
	v_cmpx_ne_u32_e32 0, v25
	s_cbranch_execz .LBB2_477
; %bb.474:                              ;   in Loop: Header=BB2_454 Depth=1
	v_mad_u64_u32 v[36:37], null, v39, 24, v[6:7]
	v_lshlrev_b32_e32 v25, 2, v38
	flat_load_b32 v34, v[36:37]
	flat_store_b64 v[36:37], v[25:26] offset:8
	s_waitcnt vmcnt(0) lgkmcnt(1)
	v_cmp_ne_u32_e32 vcc_lo, 1, v34
	v_cmp_eq_u32_e64 s10, 1, v34
                                        ; implicit-def: $vgpr34_vgpr35
	s_delay_alu instid0(VALU_DEP_1)
	s_and_saveexec_b32 s21, s10
	s_cbranch_execz .LBB2_476
; %bb.475:                              ;   in Loop: Header=BB2_454 Depth=1
	flat_load_b32 v34, v[36:37] offset:4 glc
	s_waitcnt vmcnt(0) lgkmcnt(0)
	v_ashrrev_i32_e32 v35, 31, v34
	s_delay_alu instid0(VALU_DEP_1)
	v_lshrrev_b64 v[34:35], 2, v[34:35]
.LBB2_476:                              ;   in Loop: Header=BB2_454 Depth=1
	s_or_b32 exec_lo, exec_lo, s21
	s_delay_alu instid0(SALU_CYCLE_1)
	s_or_not1_b32 s10, vcc_lo, exec_lo
.LBB2_477:                              ;   in Loop: Header=BB2_454 Depth=1
	s_or_b32 exec_lo, exec_lo, s20
	s_and_saveexec_b32 s20, s10
; %bb.478:                              ;   in Loop: Header=BB2_454 Depth=1
	v_mad_i64_i32 v[34:35], null, v39, v50, 0
; %bb.479:                              ;   in Loop: Header=BB2_454 Depth=1
	s_or_b32 exec_lo, exec_lo, s20
	s_delay_alu instid0(VALU_DEP_1) | instskip(SKIP_2) | instid1(VALU_DEP_2)
	v_lshlrev_b64 v[34:35], 2, v[34:35]
	v_and_b32_e32 v25, 0x2000, v48
	s_mov_b32 s10, exec_lo
	v_add_co_u32 v34, vcc_lo, v18, v34
	s_delay_alu instid0(VALU_DEP_3)
	v_add_co_ci_u32_e32 v35, vcc_lo, v19, v35, vcc_lo
	ds_store_b64 v0, v[34:35] offset:784
	v_cmpx_ne_u32_e32 0, v25
	s_cbranch_execz .LBB2_481
; %bb.480:                              ;   in Loop: Header=BB2_454 Depth=1
	ds_load_b64 v[34:35], v0 offset:584
	s_waitcnt lgkmcnt(0)
	v_add_co_u32 v34, vcc_lo, v34, 1
	v_add_co_ci_u32_e32 v35, vcc_lo, 0, v35, vcc_lo
	ds_store_b64 v0, v[34:35] offset:584
.LBB2_481:                              ;   in Loop: Header=BB2_454 Depth=1
	s_or_b32 exec_lo, exec_lo, s10
	v_add_co_u32 v8, vcc_lo, v8, 1
	v_add_co_ci_u32_e32 v9, vcc_lo, 0, v9, vcc_lo
.LBB2_482:                              ;   in Loop: Header=BB2_454 Depth=1
	s_or_b32 exec_lo, exec_lo, s11
	s_and_saveexec_b32 s10, s2
	s_cbranch_execz .LBB2_504
; %bb.483:                              ;   in Loop: Header=BB2_454 Depth=1
	s_and_saveexec_b32 s11, s3
	s_delay_alu instid0(SALU_CYCLE_1)
	s_xor_b32 s11, exec_lo, s11
	s_cbranch_execz .LBB2_501
; %bb.484:                              ;   in Loop: Header=BB2_454 Depth=1
	s_and_saveexec_b32 s20, s4
	s_cbranch_execz .LBB2_500
; %bb.485:                              ;   in Loop: Header=BB2_454 Depth=1
	s_mov_b32 s22, exec_lo
	s_mov_b32 s21, exec_lo
	v_mbcnt_lo_u32_b32 v25, s22, 0
	s_waitcnt lgkmcnt(0)
	s_waitcnt_vscnt null, 0x0
	buffer_gl1_inv
	buffer_gl0_inv
	v_cmpx_eq_u32_e32 0, v25
	s_cbranch_execz .LBB2_487
; %bb.486:                              ;   in Loop: Header=BB2_454 Depth=1
	s_bcnt1_i32_b32 s22, s22
	s_delay_alu instid0(SALU_CYCLE_1)
	v_mov_b32_e32 v25, s22
	ds_add_u64 v0, v[25:26]
	s_cbranch_execnz .LBB2_782
.LBB2_487:                              ;   in Loop: Header=BB2_454 Depth=1
	s_or_b32 exec_lo, exec_lo, s21
	s_cbranch_execnz .LBB2_772
; %bb.488:                              ;   in Loop: Header=BB2_454 Depth=1
	ds_load_b64 v[34:35], v0
	v_add_co_u32 v10, vcc_lo, v10, v52
	v_add_co_ci_u32_e32 v11, vcc_lo, 0, v11, vcc_lo
	s_mov_b32 s21, exec_lo
	s_waitcnt lgkmcnt(0)
	s_delay_alu instid0(VALU_DEP_1)
	v_cmpx_lt_u64_e64 v[34:35], v[10:11]
	s_cbranch_execz .LBB2_499
; %bb.489:                              ;   in Loop: Header=BB2_454 Depth=1
	s_mov_b32 s22, 0
	s_mov_b32 s25, 0
                                        ; implicit-def: $sgpr23
                                        ; implicit-def: $sgpr24
	s_branch .LBB2_491
.LBB2_490:                              ;   in Loop: Header=BB2_491 Depth=2
	s_or_b32 exec_lo, exec_lo, s28
	s_delay_alu instid0(SALU_CYCLE_1) | instskip(NEXT) | instid1(SALU_CYCLE_1)
	s_and_b32 s26, exec_lo, s27
	s_or_b32 s22, s26, s22
	s_and_not1_b32 s23, s23, exec_lo
	s_and_b32 s26, s24, exec_lo
	s_delay_alu instid0(SALU_CYCLE_1)
	s_or_b32 s23, s23, s26
	s_and_not1_b32 exec_lo, exec_lo, s22
	s_cbranch_execz .LBB2_497
.LBB2_491:                              ;   Parent Loop BB2_454 Depth=1
                                        ; =>  This Inner Loop Header: Depth=2
	s_add_i32 s25, s25, 1
                                        ; implicit-def: $sgpr27
	s_delay_alu instid0(SALU_CYCLE_1) | instskip(SKIP_1) | instid1(SALU_CYCLE_1)
	s_cmpk_lg_i32 s25, 0x2710
	s_cselect_b32 s26, -1, 0
	s_and_b32 vcc_lo, exec_lo, s26
	s_cbranch_vccz .LBB2_495
.LBB2_492:                              ;   in Loop: Header=BB2_491 Depth=2
	s_and_not1_b32 s24, s24, exec_lo
	s_and_b32 s28, s27, exec_lo
	s_mov_b32 s27, -1
	s_or_b32 s24, s24, s28
	s_and_saveexec_b32 s28, s26
	s_cbranch_execz .LBB2_490
; %bb.493:                              ;   in Loop: Header=BB2_491 Depth=2
	s_sleep 1
	s_cbranch_execnz .LBB2_810
; %bb.494:                              ;   in Loop: Header=BB2_491 Depth=2
	ds_load_b64 v[34:35], v0
	s_and_not1_b32 s24, s24, exec_lo
	s_waitcnt lgkmcnt(0)
	v_cmp_ge_u64_e32 vcc_lo, v[34:35], v[10:11]
	s_or_not1_b32 s27, vcc_lo, exec_lo
	s_branch .LBB2_490
.LBB2_495:                              ;   in Loop: Header=BB2_491 Depth=2
	s_cbranch_execnz .LBB2_820
; %bb.496:                              ;   in Loop: Header=BB2_491 Depth=2
	ds_load_b64 v[34:35], v0
	s_and_not1_b32 s26, s26, exec_lo
	s_mov_b32 s25, 0
	s_mov_b32 s27, -1
	s_waitcnt lgkmcnt(0)
	flat_load_b32 v25, v[34:35] glc
	s_waitcnt vmcnt(0) lgkmcnt(0)
	buffer_gl1_inv
	buffer_gl0_inv
	v_cmp_eq_u32_e32 vcc_lo, 0, v25
	s_and_b32 s28, vcc_lo, exec_lo
	s_delay_alu instid0(SALU_CYCLE_1)
	s_or_b32 s26, s26, s28
	s_branch .LBB2_492
.LBB2_497:                              ;   in Loop: Header=BB2_454 Depth=1
	s_or_b32 exec_lo, exec_lo, s22
	s_and_saveexec_b32 s22, s23
	s_delay_alu instid0(SALU_CYCLE_1)
	s_xor_b32 s22, exec_lo, s22
	s_cbranch_execz .LBB2_499
; %bb.498:                              ;   in Loop: Header=BB2_454 Depth=1
	ds_store_b32 v0, v81
	s_cbranch_execnz .LBB2_918
.LBB2_499:                              ;   in Loop: Header=BB2_454 Depth=1
	s_or_b32 exec_lo, exec_lo, s21
	;;#ASMSTART
	s_wakeup
	;;#ASMEND
.LBB2_500:                              ;   in Loop: Header=BB2_454 Depth=1
	s_or_b32 exec_lo, exec_lo, s20
.LBB2_501:                              ;   in Loop: Header=BB2_454 Depth=1
	s_and_not1_saveexec_b32 s11, s11
	s_cbranch_execz .LBB2_503
; %bb.502:                              ;   in Loop: Header=BB2_454 Depth=1
	s_waitcnt lgkmcnt(0)
	s_waitcnt_vscnt null, 0x0
	buffer_gl1_inv
	buffer_gl0_inv
	s_barrier
.LBB2_503:                              ;   in Loop: Header=BB2_454 Depth=1
	s_or_b32 exec_lo, exec_lo, s11
.LBB2_504:                              ;   in Loop: Header=BB2_454 Depth=1
	s_delay_alu instid0(SALU_CYCLE_1)
	s_or_b32 exec_lo, exec_lo, s10
	s_cbranch_execnz .LBB2_719
; %bb.505:                              ;   in Loop: Header=BB2_454 Depth=1
	ds_load_b32 v34, v0
	v_and_b32_e32 v25, 0x4000, v48
	s_delay_alu instid0(VALU_DEP_1) | instskip(SKIP_1) | instid1(SALU_CYCLE_1)
	v_cmp_ne_u32_e32 vcc_lo, 0, v25
	s_and_b32 s11, s17, vcc_lo
	s_and_saveexec_b32 s10, s11
	s_cbranch_execz .LBB2_527
; %bb.506:                              ;   in Loop: Header=BB2_454 Depth=1
	s_and_saveexec_b32 s11, s3
	s_delay_alu instid0(SALU_CYCLE_1)
	s_xor_b32 s11, exec_lo, s11
	s_cbranch_execz .LBB2_524
; %bb.507:                              ;   in Loop: Header=BB2_454 Depth=1
	s_and_saveexec_b32 s20, s4
	s_cbranch_execz .LBB2_523
; %bb.508:                              ;   in Loop: Header=BB2_454 Depth=1
	s_mov_b32 s22, exec_lo
	s_mov_b32 s21, exec_lo
	v_mbcnt_lo_u32_b32 v25, s22, 0
	s_waitcnt lgkmcnt(0)
	s_waitcnt_vscnt null, 0x0
	buffer_gl1_inv
	buffer_gl0_inv
	v_cmpx_eq_u32_e32 0, v25
	s_cbranch_execz .LBB2_510
; %bb.509:                              ;   in Loop: Header=BB2_454 Depth=1
	s_bcnt1_i32_b32 s22, s22
	s_delay_alu instid0(SALU_CYCLE_1)
	v_mov_b32_e32 v25, s22
	ds_add_u64 v0, v[25:26]
	s_cbranch_execnz .LBB2_808
.LBB2_510:                              ;   in Loop: Header=BB2_454 Depth=1
	s_or_b32 exec_lo, exec_lo, s21
	s_cbranch_execnz .LBB2_796
; %bb.511:                              ;   in Loop: Header=BB2_454 Depth=1
	ds_load_b64 v[35:36], v0
	v_add_co_u32 v10, vcc_lo, v10, v52
	v_add_co_ci_u32_e32 v11, vcc_lo, 0, v11, vcc_lo
	s_mov_b32 s21, exec_lo
	s_waitcnt lgkmcnt(0)
	s_delay_alu instid0(VALU_DEP_1)
	v_cmpx_lt_u64_e64 v[35:36], v[10:11]
	s_cbranch_execz .LBB2_522
; %bb.512:                              ;   in Loop: Header=BB2_454 Depth=1
	s_mov_b32 s22, 0
	s_mov_b32 s25, 0
                                        ; implicit-def: $sgpr23
                                        ; implicit-def: $sgpr24
	s_branch .LBB2_514
.LBB2_513:                              ;   in Loop: Header=BB2_514 Depth=2
	s_or_b32 exec_lo, exec_lo, s28
	s_delay_alu instid0(SALU_CYCLE_1) | instskip(NEXT) | instid1(SALU_CYCLE_1)
	s_and_b32 s26, exec_lo, s27
	s_or_b32 s22, s26, s22
	s_and_not1_b32 s23, s23, exec_lo
	s_and_b32 s26, s24, exec_lo
	s_delay_alu instid0(SALU_CYCLE_1)
	s_or_b32 s23, s23, s26
	s_and_not1_b32 exec_lo, exec_lo, s22
	s_cbranch_execz .LBB2_520
.LBB2_514:                              ;   Parent Loop BB2_454 Depth=1
                                        ; =>  This Inner Loop Header: Depth=2
	s_add_i32 s25, s25, 1
                                        ; implicit-def: $sgpr27
	s_delay_alu instid0(SALU_CYCLE_1) | instskip(SKIP_1) | instid1(SALU_CYCLE_1)
	s_cmpk_lg_i32 s25, 0x2710
	s_cselect_b32 s26, -1, 0
	s_and_b32 vcc_lo, exec_lo, s26
	s_cbranch_vccz .LBB2_518
.LBB2_515:                              ;   in Loop: Header=BB2_514 Depth=2
	s_and_not1_b32 s24, s24, exec_lo
	s_and_b32 s28, s27, exec_lo
	s_mov_b32 s27, -1
	s_or_b32 s24, s24, s28
	s_and_saveexec_b32 s28, s26
	s_cbranch_execz .LBB2_513
; %bb.516:                              ;   in Loop: Header=BB2_514 Depth=2
	s_sleep 1
	s_cbranch_execnz .LBB2_840
; %bb.517:                              ;   in Loop: Header=BB2_514 Depth=2
	ds_load_b64 v[35:36], v0
	s_and_not1_b32 s24, s24, exec_lo
	s_waitcnt lgkmcnt(0)
	v_cmp_ge_u64_e32 vcc_lo, v[35:36], v[10:11]
	s_or_not1_b32 s27, vcc_lo, exec_lo
	s_branch .LBB2_513
.LBB2_518:                              ;   in Loop: Header=BB2_514 Depth=2
	s_cbranch_execnz .LBB2_854
; %bb.519:                              ;   in Loop: Header=BB2_514 Depth=2
	ds_load_b64 v[35:36], v0
	s_and_not1_b32 s26, s26, exec_lo
	s_mov_b32 s25, 0
	s_mov_b32 s27, -1
	s_waitcnt lgkmcnt(0)
	flat_load_b32 v25, v[35:36] glc
	s_waitcnt vmcnt(0) lgkmcnt(0)
	buffer_gl1_inv
	buffer_gl0_inv
	v_cmp_eq_u32_e32 vcc_lo, 0, v25
	s_and_b32 s28, vcc_lo, exec_lo
	s_delay_alu instid0(SALU_CYCLE_1)
	s_or_b32 s26, s26, s28
	s_branch .LBB2_515
.LBB2_520:                              ;   in Loop: Header=BB2_454 Depth=1
	s_or_b32 exec_lo, exec_lo, s22
	s_and_saveexec_b32 s22, s23
	s_delay_alu instid0(SALU_CYCLE_1)
	s_xor_b32 s22, exec_lo, s22
	s_cbranch_execz .LBB2_522
; %bb.521:                              ;   in Loop: Header=BB2_454 Depth=1
	ds_store_b32 v0, v81
	s_cbranch_execnz .LBB2_926
.LBB2_522:                              ;   in Loop: Header=BB2_454 Depth=1
	s_or_b32 exec_lo, exec_lo, s21
	;;#ASMSTART
	s_wakeup
	;;#ASMEND
.LBB2_523:                              ;   in Loop: Header=BB2_454 Depth=1
	s_or_b32 exec_lo, exec_lo, s20
.LBB2_524:                              ;   in Loop: Header=BB2_454 Depth=1
	s_and_not1_saveexec_b32 s11, s11
	s_cbranch_execz .LBB2_526
; %bb.525:                              ;   in Loop: Header=BB2_454 Depth=1
	s_waitcnt lgkmcnt(0)
	s_waitcnt_vscnt null, 0x0
	buffer_gl1_inv
	buffer_gl0_inv
	s_barrier
.LBB2_526:                              ;   in Loop: Header=BB2_454 Depth=1
	s_or_b32 exec_lo, exec_lo, s11
.LBB2_527:                              ;   in Loop: Header=BB2_454 Depth=1
	s_delay_alu instid0(SALU_CYCLE_1)
	s_or_b32 exec_lo, exec_lo, s10
	s_cbranch_execnz .LBB2_735
; %bb.528:                              ;   in Loop: Header=BB2_454 Depth=1
	ds_load_b64 v[35:36], v0
	s_waitcnt lgkmcnt(0)
	v_cmp_eq_u64_e32 vcc_lo, 0, v[35:36]
	s_or_b32 s10, vcc_lo, vcc_lo
	s_delay_alu instid0(SALU_CYCLE_1)
	s_and_b32 vcc_lo, exec_lo, s10
	s_mov_b32 s10, 0
	s_cbranch_vccnz .LBB2_562
; %bb.529:                              ;   in Loop: Header=BB2_454 Depth=1
	s_mov_b32 s10, -1
	s_and_saveexec_b32 s11, s5
	s_cbranch_execz .LBB2_531
; %bb.530:                              ;   in Loop: Header=BB2_454 Depth=1
	ds_load_b32 v25, v0 offset:720
	s_waitcnt lgkmcnt(0)
	v_and_b32_e32 v25, 15, v25
	s_delay_alu instid0(VALU_DEP_1)
	v_cmp_eq_u32_e32 vcc_lo, 0, v25
	s_or_not1_b32 s10, vcc_lo, exec_lo
.LBB2_531:                              ;   in Loop: Header=BB2_454 Depth=1
	s_or_b32 exec_lo, exec_lo, s11
	s_and_saveexec_b32 s11, s6
	s_cbranch_execz .LBB2_533
; %bb.532:                              ;   in Loop: Header=BB2_454 Depth=1
	ds_load_b32 v25, v0 offset:784
	s_waitcnt lgkmcnt(0)
	v_and_b32_e32 v25, 15, v25
	s_delay_alu instid0(VALU_DEP_1) | instskip(SKIP_3) | instid1(SALU_CYCLE_1)
	v_cmp_eq_u32_e32 vcc_lo, 0, v25
	s_and_b32 s20, s10, vcc_lo
	s_and_not1_b32 s10, s10, exec_lo
	s_and_b32 s20, s20, exec_lo
	s_or_b32 s10, s10, s20
.LBB2_533:                              ;   in Loop: Header=BB2_454 Depth=1
	s_or_b32 exec_lo, exec_lo, s11
	v_cmp_eq_u32_e32 vcc_lo, 0, v34
	s_xor_b32 s10, s10, -1
	v_mov_b32_e32 v36, 0
	v_cndmask_b32_e64 v35, 0, 1, s10
	;;#ASMSTART
	;;#ASMEND
	v_cndmask_b32_e32 v25, 0, v38, vcc_lo
	s_delay_alu instid0(VALU_DEP_2) | instskip(SKIP_1) | instid1(VALU_DEP_2)
	v_cmp_ne_u32_e32 vcc_lo, 0, v35
	s_mov_b32 s10, -1
	v_lshlrev_b32_e32 v39, 2, v25
	s_cbranch_vccz .LBB2_535
; %bb.534:                              ;   in Loop: Header=BB2_454 Depth=1
	v_mov_b32_e32 v37, v0
	v_mov_b32_e32 v87, v53
	s_branch .LBB2_550
.LBB2_535:                              ;   in Loop: Header=BB2_454 Depth=1
	v_lshrrev_b32_e32 v82, 8, v25
	s_mov_b32 s11, exec_lo
	s_delay_alu instid0(VALU_DEP_1) | instskip(NEXT) | instid1(VALU_DEP_1)
	v_sub_nc_u32_e32 v83, v82, v53
	v_cmpx_lt_i32_e32 0, v83
	s_cbranch_execz .LBB2_540
; %bb.536:                              ;   in Loop: Header=BB2_454 Depth=1
	s_cbranch_execnz .LBB2_824
; %bb.537:                              ;   in Loop: Header=BB2_454 Depth=1
	ds_load_b64 v[34:35], v0
	v_dual_mov_b32 v37, v28 :: v_dual_mov_b32 v36, v27
	s_mov_b32 s20, 0
.LBB2_538:                              ;   Parent Loop BB2_454 Depth=1
                                        ; =>  This Inner Loop Header: Depth=2
	s_waitcnt lgkmcnt(0)
	s_delay_alu instid0(VALU_DEP_1) | instskip(NEXT) | instid1(VALU_DEP_2)
	v_add_co_u32 v100, vcc_lo, v34, v36
	v_add_co_ci_u32_e32 v101, vcc_lo, v35, v37, vcc_lo
	v_sub_nc_u32_e32 v83, v83, v52
	v_add_co_u32 v36, s10, v36, v64
	s_clause 0x1
	global_load_b128 v[84:87], v[100:101], off slc dlc
	global_load_b128 v[96:99], v[100:101], off offset:512 slc dlc
	v_add_co_ci_u32_e64 v37, s10, v37, v65, s10
	v_cmp_gt_i32_e32 vcc_lo, 1, v83
	s_waitcnt vmcnt(1)
	global_store_b128 v[100:101], v[84:87], off glc slc dlc
	s_waitcnt vmcnt(0)
	global_store_b128 v[100:101], v[96:99], off offset:512 glc slc dlc
	s_or_b32 s20, vcc_lo, s20
	s_delay_alu instid0(SALU_CYCLE_1)
	s_and_not1_b32 exec_lo, exec_lo, s20
	s_cbranch_execnz .LBB2_538
; %bb.539:                              ;   in Loop: Header=BB2_454 Depth=1
	s_or_b32 exec_lo, exec_lo, s20
.LBB2_540:                              ;   in Loop: Header=BB2_454 Depth=1
	s_delay_alu instid0(SALU_CYCLE_1) | instskip(SKIP_4) | instid1(VALU_DEP_2)
	s_or_b32 exec_lo, exec_lo, s11
	v_lshlrev_b32_e32 v82, 10, v82
	v_mov_b32_e32 v36, 0
	s_mov_b32 s10, 0
	s_mov_b32 s20, exec_lo
                                        ; implicit-def: $vgpr37
                                        ; implicit-def: $vgpr87
	v_cmpx_ne_u32_e64 v39, v82
	s_cbranch_execz .LBB2_549
; %bb.541:                              ;   in Loop: Header=BB2_454 Depth=1
	v_lshlrev_b32_e32 v34, 5, v83
	v_sub_nc_u32_e32 v36, v39, v82
	s_mov_b32 s21, exec_lo
	s_delay_alu instid0(VALU_DEP_2) | instskip(NEXT) | instid1(VALU_DEP_2)
	v_sub_nc_u32_e32 v34, v55, v34
	v_ashrrev_i32_e32 v37, 31, v36
	s_delay_alu instid0(VALU_DEP_2) | instskip(NEXT) | instid1(VALU_DEP_2)
	v_ashrrev_i32_e32 v35, 31, v34
	v_lshrrev_b32_e32 v37, 23, v37
	s_delay_alu instid0(VALU_DEP_2) | instskip(NEXT) | instid1(VALU_DEP_2)
	v_lshrrev_b32_e32 v35, 27, v35
	v_add_nc_u32_e32 v37, v36, v37
	s_delay_alu instid0(VALU_DEP_2) | instskip(NEXT) | instid1(VALU_DEP_2)
	v_add_nc_u32_e32 v35, v34, v35
	v_ashrrev_i32_e32 v86, 9, v37
	s_delay_alu instid0(VALU_DEP_2) | instskip(NEXT) | instid1(VALU_DEP_1)
	v_and_b32_e32 v83, 0xffffffe0, v35
	v_sub_nc_u32_e32 v84, v34, v83
	v_and_b32_e32 v83, 0xfffffe00, v37
	v_ashrrev_i32_e32 v34, 5, v35
	s_delay_alu instid0(VALU_DEP_3) | instskip(NEXT) | instid1(VALU_DEP_3)
	v_lshlrev_b32_e32 v35, 4, v84
	v_sub_nc_u32_e32 v85, v36, v83
	s_delay_alu instid0(VALU_DEP_2) | instskip(NEXT) | instid1(VALU_DEP_2)
	v_lshl_add_u32 v37, v34, 9, v35
	v_cmp_lt_i32_e32 vcc_lo, 15, v85
	s_delay_alu instid0(VALU_DEP_2) | instskip(SKIP_1) | instid1(VALU_DEP_1)
	v_sub_nc_u32_e32 v36, v36, v37
	v_add_co_ci_u32_e64 v35, s10, 0, v86, vcc_lo
	v_sub_nc_u32_e32 v86, v35, v34
	s_delay_alu instid0(VALU_DEP_3)
	v_cmpx_lt_i32_e32 15, v36
	s_cbranch_execz .LBB2_546
; %bb.542:                              ;   in Loop: Header=BB2_454 Depth=1
	s_cbranch_execnz .LBB2_878
; %bb.543:                              ;   in Loop: Header=BB2_454 Depth=1
	ds_load_b64 v[34:35], v0
	v_add_nc_u32_e32 v37, v37, v82
	s_mov_b32 s22, 0
	s_delay_alu instid0(VALU_DEP_1)
	v_ashrrev_i32_e32 v87, 31, v37
.LBB2_544:                              ;   Parent Loop BB2_454 Depth=1
                                        ; =>  This Inner Loop Header: Depth=2
	s_waitcnt lgkmcnt(0)
	v_add_co_u32 v100, s10, v34, v37
	s_delay_alu instid0(VALU_DEP_1)
	v_add_co_ci_u32_e64 v101, s10, v35, v87, s10
	v_sub_nc_u32_e32 v36, v36, v54
	v_add_co_u32 v37, s11, v37, v67
	global_load_b128 v[96:99], v[100:101], off slc dlc
	v_sub_nc_u32_e32 v86, v86, v52
	v_cmp_gt_i32_e64 s10, 16, v36
	v_add_co_ci_u32_e64 v87, s11, v87, v68, s11
	s_delay_alu instid0(VALU_DEP_2)
	s_or_b32 s22, s10, s22
	s_waitcnt vmcnt(0)
	global_store_b128 v[100:101], v[96:99], off glc slc dlc
	s_and_not1_b32 exec_lo, exec_lo, s22
	s_cbranch_execnz .LBB2_544
; %bb.545:                              ;   in Loop: Header=BB2_454 Depth=1
	s_or_b32 exec_lo, exec_lo, s22
.LBB2_546:                              ;   in Loop: Header=BB2_454 Depth=1
	s_delay_alu instid0(SALU_CYCLE_1) | instskip(SKIP_3) | instid1(VALU_DEP_1)
	s_or_b32 exec_lo, exec_lo, s21
	v_and_b32_e32 v34, 12, v39
	s_mov_b32 s11, 0
	s_mov_b32 s21, exec_lo
                                        ; implicit-def: $vgpr37
                                        ; implicit-def: $vgpr87
	v_dual_mov_b32 v36, 0 :: v_dual_cndmask_b32 v39, v85, v34
	s_delay_alu instid0(VALU_DEP_1)
	v_cmpx_ne_u32_e32 0, v39
; %bb.547:                              ;   in Loop: Header=BB2_454 Depth=1
	v_cmp_lt_i32_e64 s10, 0, v86
	v_sub_nc_u32_e32 v34, v85, v34
	s_mov_b32 s11, exec_lo
	s_delay_alu instid0(VALU_DEP_2) | instskip(NEXT) | instid1(VALU_DEP_1)
	v_cndmask_b32_e64 v35, 0, v52, s10
	v_sub_nc_u32_e32 v35, v35, v86
	s_delay_alu instid0(VALU_DEP_1) | instskip(NEXT) | instid1(VALU_DEP_1)
	v_lshl_add_u32 v37, v35, 5, v84
	v_ashrrev_i32_e32 v35, 31, v37
	s_delay_alu instid0(VALU_DEP_1) | instskip(NEXT) | instid1(VALU_DEP_1)
	v_lshrrev_b32_e32 v35, 27, v35
	v_dual_cndmask_b32 v34, 0, v34 :: v_dual_add_nc_u32 v35, v37, v35
	s_delay_alu instid0(VALU_DEP_1) | instskip(NEXT) | instid1(VALU_DEP_2)
	v_add3_u32 v36, v83, v82, v34
	v_ashrrev_i32_e32 v87, 5, v35
; %bb.548:                              ;   in Loop: Header=BB2_454 Depth=1
	s_or_b32 exec_lo, exec_lo, s21
	s_delay_alu instid0(SALU_CYCLE_1)
	s_and_b32 s10, s11, exec_lo
.LBB2_549:                              ;   in Loop: Header=BB2_454 Depth=1
	s_or_b32 exec_lo, exec_lo, s20
.LBB2_550:                              ;   in Loop: Header=BB2_454 Depth=1
	s_and_saveexec_b32 s11, s10
	s_cbranch_execz .LBB2_561
; %bb.551:                              ;   in Loop: Header=BB2_454 Depth=1
	v_ashrrev_i32_e32 v34, 31, v39
	s_mov_b32 s20, exec_lo
	s_delay_alu instid0(VALU_DEP_1) | instskip(NEXT) | instid1(VALU_DEP_1)
	v_lshrrev_b32_e32 v34, 24, v34
	v_add_nc_u32_e32 v34, v39, v34
	s_delay_alu instid0(VALU_DEP_1) | instskip(NEXT) | instid1(VALU_DEP_1)
	v_ashrrev_i32_e32 v83, 8, v34
	v_sub_nc_u32_e32 v82, v83, v87
	s_delay_alu instid0(VALU_DEP_1)
	v_cmpx_lt_i32_e32 0, v82
	s_cbranch_execz .LBB2_556
; %bb.552:                              ;   in Loop: Header=BB2_454 Depth=1
	s_cbranch_execnz .LBB2_812
; %bb.553:                              ;   in Loop: Header=BB2_454 Depth=1
	v_ashrrev_i32_e32 v34, 31, v37
	v_lshlrev_b32_e32 v85, 8, v87
	s_mov_b32 s21, 0
	s_delay_alu instid0(VALU_DEP_2) | instskip(NEXT) | instid1(VALU_DEP_1)
	v_lshrrev_b32_e32 v34, 27, v34
	v_add_nc_u32_e32 v34, v37, v34
	s_delay_alu instid0(VALU_DEP_1) | instskip(NEXT) | instid1(VALU_DEP_1)
	v_and_b32_e32 v34, 0x3fffffe0, v34
	v_sub_nc_u32_e32 v84, v37, v34
	ds_load_b64 v[34:35], v0
	v_lshlrev_b32_e32 v84, 2, v84
	s_delay_alu instid0(VALU_DEP_1) | instskip(NEXT) | instid1(VALU_DEP_1)
	v_add3_u32 v84, v84, v36, v85
	v_ashrrev_i32_e32 v85, 31, v84
.LBB2_554:                              ;   Parent Loop BB2_454 Depth=1
                                        ; =>  This Inner Loop Header: Depth=2
	s_waitcnt lgkmcnt(0)
	v_add_co_u32 v86, vcc_lo, v34, v84
	s_delay_alu instid0(VALU_DEP_2)
	v_add_co_ci_u32_e32 v87, vcc_lo, v35, v85, vcc_lo
	v_sub_nc_u32_e32 v82, v82, v52
	v_add_co_u32 v84, s10, v84, v69
	s_clause 0x1
	flat_load_b32 v96, v[86:87] slc dlc
	flat_load_b32 v97, v[86:87] offset:128 slc dlc
	v_add_co_ci_u32_e64 v85, s10, v85, v70, s10
	v_cmp_gt_i32_e32 vcc_lo, 1, v82
	s_waitcnt vmcnt(1) lgkmcnt(1)
	flat_store_b32 v[86:87], v96 glc slc dlc
	s_waitcnt vmcnt(0) lgkmcnt(1)
	flat_store_b32 v[86:87], v97 offset:128 glc slc dlc
	s_or_b32 s21, vcc_lo, s21
	s_delay_alu instid0(SALU_CYCLE_1)
	s_and_not1_b32 exec_lo, exec_lo, s21
	s_cbranch_execnz .LBB2_554
; %bb.555:                              ;   in Loop: Header=BB2_454 Depth=1
	s_or_b32 exec_lo, exec_lo, s21
.LBB2_556:                              ;   in Loop: Header=BB2_454 Depth=1
	s_delay_alu instid0(SALU_CYCLE_1) | instskip(SKIP_1) | instid1(VALU_DEP_1)
	s_or_b32 exec_lo, exec_lo, s20
	v_lshlrev_b32_e32 v34, 8, v83
	v_cmp_ne_u32_e32 vcc_lo, v39, v34
	s_and_b32 exec_lo, exec_lo, vcc_lo
	s_cbranch_execz .LBB2_561
; %bb.557:                              ;   in Loop: Header=BB2_454 Depth=1
	v_ashrrev_i32_e32 v35, 31, v37
	s_delay_alu instid0(VALU_DEP_1) | instskip(NEXT) | instid1(VALU_DEP_1)
	v_lshrrev_b32_e32 v35, 27, v35
	v_add_nc_u32_e32 v35, v37, v35
	s_delay_alu instid0(VALU_DEP_1) | instskip(NEXT) | instid1(VALU_DEP_1)
	v_and_b32_e32 v35, 0xffffffe0, v35
	v_sub_nc_u32_e32 v35, v37, v35
	v_lshlrev_b32_e32 v37, 5, v82
	s_delay_alu instid0(VALU_DEP_1) | instskip(NEXT) | instid1(VALU_DEP_1)
	v_sub_nc_u32_e32 v35, v35, v37
	v_ashrrev_i32_e32 v37, 31, v35
	s_delay_alu instid0(VALU_DEP_1) | instskip(NEXT) | instid1(VALU_DEP_1)
	v_lshrrev_b32_e32 v37, 27, v37
	v_add_nc_u32_e32 v37, v35, v37
	s_delay_alu instid0(VALU_DEP_1) | instskip(SKIP_1) | instid1(VALU_DEP_2)
	v_and_b32_e32 v82, 0x3fffffe0, v37
	v_lshlrev_b32_e32 v37, 2, v37
	v_sub_nc_u32_e32 v35, v35, v82
	s_delay_alu instid0(VALU_DEP_2) | instskip(NEXT) | instid1(VALU_DEP_2)
	v_and_b32_e32 v37, 0xffffff80, v37
	v_lshlrev_b32_e32 v35, 2, v35
	s_delay_alu instid0(VALU_DEP_1) | instskip(NEXT) | instid1(VALU_DEP_1)
	v_add3_u32 v82, v37, v35, v34
	v_sub_nc_u32_e32 v37, v39, v82
	s_delay_alu instid0(VALU_DEP_1)
	v_cmp_lt_i32_e32 vcc_lo, 3, v37
	s_and_b32 exec_lo, exec_lo, vcc_lo
	s_cbranch_execz .LBB2_561
; %bb.558:                              ;   in Loop: Header=BB2_454 Depth=1
	s_cbranch_execnz .LBB2_860
; %bb.559:                              ;   in Loop: Header=BB2_454 Depth=1
	ds_load_b64 v[34:35], v0
	v_add_nc_u32_e32 v36, v82, v36
	s_mov_b32 s20, 0
	s_delay_alu instid0(VALU_DEP_1)
	v_ashrrev_i32_e32 v39, 31, v36
.LBB2_560:                              ;   Parent Loop BB2_454 Depth=1
                                        ; =>  This Inner Loop Header: Depth=2
	s_waitcnt lgkmcnt(0)
	v_add_co_u32 v82, vcc_lo, v34, v36
	s_delay_alu instid0(VALU_DEP_2)
	v_add_co_ci_u32_e32 v83, vcc_lo, v35, v39, vcc_lo
	v_sub_nc_u32_e32 v37, v37, v66
	v_add_co_u32 v36, s10, v36, v71
	flat_load_b32 v84, v[82:83] slc dlc
	v_add_co_ci_u32_e64 v39, s10, v39, v80, s10
	v_cmp_gt_i32_e32 vcc_lo, 4, v37
	s_or_b32 s20, vcc_lo, s20
	s_waitcnt vmcnt(0) lgkmcnt(0)
	flat_store_b32 v[82:83], v84 glc slc dlc
	s_and_not1_b32 exec_lo, exec_lo, s20
	s_cbranch_execnz .LBB2_560
.LBB2_561:                              ;   in Loop: Header=BB2_454 Depth=1
	s_or_b32 exec_lo, exec_lo, s11
	v_cmp_ne_u32_e64 s10, 0, v25
.LBB2_562:                              ;   in Loop: Header=BB2_454 Depth=1
	s_and_saveexec_b32 s11, s2
	s_cbranch_execz .LBB2_584
; %bb.563:                              ;   in Loop: Header=BB2_454 Depth=1
	s_and_saveexec_b32 s20, s3
	s_delay_alu instid0(SALU_CYCLE_1)
	s_xor_b32 s20, exec_lo, s20
	s_cbranch_execz .LBB2_581
; %bb.564:                              ;   in Loop: Header=BB2_454 Depth=1
	s_and_saveexec_b32 s21, s4
	s_cbranch_execz .LBB2_580
; %bb.565:                              ;   in Loop: Header=BB2_454 Depth=1
	s_mov_b32 s23, exec_lo
	s_mov_b32 s22, exec_lo
	v_mbcnt_lo_u32_b32 v25, s23, 0
	s_waitcnt lgkmcnt(0)
	s_waitcnt_vscnt null, 0x0
	buffer_gl1_inv
	buffer_gl0_inv
	v_cmpx_eq_u32_e32 0, v25
	s_cbranch_execz .LBB2_567
; %bb.566:                              ;   in Loop: Header=BB2_454 Depth=1
	s_bcnt1_i32_b32 s23, s23
	s_delay_alu instid0(SALU_CYCLE_1)
	v_mov_b32_e32 v25, s23
	ds_add_u64 v0, v[25:26]
	s_cbranch_execnz .LBB2_842
.LBB2_567:                              ;   in Loop: Header=BB2_454 Depth=1
	s_or_b32 exec_lo, exec_lo, s22
	s_cbranch_execnz .LBB2_828
; %bb.568:                              ;   in Loop: Header=BB2_454 Depth=1
	ds_load_b64 v[34:35], v0
	v_add_co_u32 v10, vcc_lo, v10, v52
	v_add_co_ci_u32_e32 v11, vcc_lo, 0, v11, vcc_lo
	s_mov_b32 s22, exec_lo
	s_waitcnt lgkmcnt(0)
	s_delay_alu instid0(VALU_DEP_1)
	v_cmpx_lt_u64_e64 v[34:35], v[10:11]
	s_cbranch_execz .LBB2_579
; %bb.569:                              ;   in Loop: Header=BB2_454 Depth=1
	s_mov_b32 s23, 0
	s_mov_b32 s26, 0
                                        ; implicit-def: $sgpr24
                                        ; implicit-def: $sgpr25
	s_branch .LBB2_571
.LBB2_570:                              ;   in Loop: Header=BB2_571 Depth=2
	s_or_b32 exec_lo, exec_lo, s29
	s_delay_alu instid0(SALU_CYCLE_1) | instskip(NEXT) | instid1(SALU_CYCLE_1)
	s_and_b32 s27, exec_lo, s28
	s_or_b32 s23, s27, s23
	s_and_not1_b32 s24, s24, exec_lo
	s_and_b32 s27, s25, exec_lo
	s_delay_alu instid0(SALU_CYCLE_1)
	s_or_b32 s24, s24, s27
	s_and_not1_b32 exec_lo, exec_lo, s23
	s_cbranch_execz .LBB2_577
.LBB2_571:                              ;   Parent Loop BB2_454 Depth=1
                                        ; =>  This Inner Loop Header: Depth=2
	s_add_i32 s26, s26, 1
                                        ; implicit-def: $sgpr28
	s_delay_alu instid0(SALU_CYCLE_1) | instskip(SKIP_1) | instid1(SALU_CYCLE_1)
	s_cmpk_lg_i32 s26, 0x2710
	s_cselect_b32 s27, -1, 0
	s_and_b32 vcc_lo, exec_lo, s27
	s_cbranch_vccz .LBB2_575
.LBB2_572:                              ;   in Loop: Header=BB2_571 Depth=2
	s_and_not1_b32 s25, s25, exec_lo
	s_and_b32 s29, s28, exec_lo
	s_mov_b32 s28, -1
	s_or_b32 s25, s25, s29
	s_and_saveexec_b32 s29, s27
	s_cbranch_execz .LBB2_570
; %bb.573:                              ;   in Loop: Header=BB2_571 Depth=2
	s_sleep 1
	s_cbranch_execnz .LBB2_892
; %bb.574:                              ;   in Loop: Header=BB2_571 Depth=2
	ds_load_b64 v[34:35], v0
	s_and_not1_b32 s25, s25, exec_lo
	s_waitcnt lgkmcnt(0)
	v_cmp_ge_u64_e32 vcc_lo, v[34:35], v[10:11]
	s_or_not1_b32 s28, vcc_lo, exec_lo
	s_branch .LBB2_570
.LBB2_575:                              ;   in Loop: Header=BB2_571 Depth=2
	s_cbranch_execnz .LBB2_902
; %bb.576:                              ;   in Loop: Header=BB2_571 Depth=2
	ds_load_b64 v[34:35], v0
	s_and_not1_b32 s27, s27, exec_lo
	s_mov_b32 s26, 0
	s_mov_b32 s28, -1
	s_waitcnt lgkmcnt(0)
	flat_load_b32 v25, v[34:35] glc
	s_waitcnt vmcnt(0) lgkmcnt(0)
	buffer_gl1_inv
	buffer_gl0_inv
	v_cmp_eq_u32_e32 vcc_lo, 0, v25
	s_and_b32 s29, vcc_lo, exec_lo
	s_delay_alu instid0(SALU_CYCLE_1)
	s_or_b32 s27, s27, s29
	s_branch .LBB2_572
.LBB2_577:                              ;   in Loop: Header=BB2_454 Depth=1
	s_or_b32 exec_lo, exec_lo, s23
	s_and_saveexec_b32 s23, s24
	s_delay_alu instid0(SALU_CYCLE_1)
	s_xor_b32 s23, exec_lo, s23
	s_cbranch_execz .LBB2_579
; %bb.578:                              ;   in Loop: Header=BB2_454 Depth=1
	ds_store_b32 v0, v81
	s_cbranch_execnz .LBB2_936
.LBB2_579:                              ;   in Loop: Header=BB2_454 Depth=1
	s_or_b32 exec_lo, exec_lo, s22
	;;#ASMSTART
	s_wakeup
	;;#ASMEND
.LBB2_580:                              ;   in Loop: Header=BB2_454 Depth=1
	s_or_b32 exec_lo, exec_lo, s21
.LBB2_581:                              ;   in Loop: Header=BB2_454 Depth=1
	s_and_not1_saveexec_b32 s20, s20
	s_cbranch_execz .LBB2_583
; %bb.582:                              ;   in Loop: Header=BB2_454 Depth=1
	s_waitcnt lgkmcnt(0)
	s_waitcnt_vscnt null, 0x0
	buffer_gl1_inv
	buffer_gl0_inv
	s_barrier
.LBB2_583:                              ;   in Loop: Header=BB2_454 Depth=1
	s_or_b32 exec_lo, exec_lo, s20
.LBB2_584:                              ;   in Loop: Header=BB2_454 Depth=1
	s_delay_alu instid0(SALU_CYCLE_1) | instskip(SKIP_1) | instid1(VALU_DEP_1)
	s_or_b32 exec_lo, exec_lo, s11
	v_and_b32_e32 v25, 16, v48
	v_cmp_ne_u32_e32 vcc_lo, 0, v25
	s_and_b32 s11, vcc_lo, s10
	s_delay_alu instid0(SALU_CYCLE_1)
	s_and_saveexec_b32 s10, s11
	s_cbranch_execz .LBB2_586
; %bb.585:                              ;   in Loop: Header=BB2_454 Depth=1
	s_waitcnt lgkmcnt(0)
	s_waitcnt_vscnt null, 0x0
	buffer_gl1_inv
	buffer_gl0_inv
.LBB2_586:                              ;   in Loop: Header=BB2_454 Depth=1
	s_or_b32 exec_lo, exec_lo, s10
	s_delay_alu instid0(SALU_CYCLE_1)
	s_mov_b32 s10, exec_lo
	v_cmpx_ne_u32_e32 0, v25
	s_cbranch_execz .LBB2_590
; %bb.587:                              ;   in Loop: Header=BB2_454 Depth=1
	s_and_saveexec_b32 s11, s7
	s_cbranch_execz .LBB2_589
; %bb.588:                              ;   in Loop: Header=BB2_454 Depth=1
	s_waitcnt lgkmcnt(0)
	s_waitcnt_vscnt null, 0x0
	flat_store_b32 v[22:23], v81
.LBB2_589:                              ;   in Loop: Header=BB2_454 Depth=1
	s_or_b32 exec_lo, exec_lo, s11
	v_add_co_u32 v8, vcc_lo, v8, 1
	v_add_co_ci_u32_e32 v9, vcc_lo, 0, v9, vcc_lo
	s_waitcnt lgkmcnt(0)
	s_waitcnt_vscnt null, 0x0
	flat_store_b64 v[16:17], v[8:9]
.LBB2_590:                              ;   in Loop: Header=BB2_454 Depth=1
	s_or_b32 exec_lo, exec_lo, s10
	v_mov_b32_e32 v25, v38
.LBB2_591:                              ;   in Loop: Header=BB2_454 Depth=1
	s_or_b32 exec_lo, exec_lo, s19
	s_and_saveexec_b32 s11, s18
	s_cbranch_execz .LBB2_648
; %bb.592:                              ;   in Loop: Header=BB2_454 Depth=1
	v_and_b32_e32 v34, 8, v48
	s_mov_b32 s18, -1
	s_mov_b32 s10, exec_lo
	s_delay_alu instid0(VALU_DEP_1)
	v_cmpx_ne_u32_e32 0, v34
	s_cbranch_execz .LBB2_606
; %bb.593:                              ;   in Loop: Header=BB2_454 Depth=1
	v_add_co_u32 v36, vcc_lo, v20, 8
	v_add_co_ci_u32_e32 v37, vcc_lo, 0, v21, vcc_lo
	v_add_co_u32 v34, vcc_lo, v8, 1
	v_add_co_ci_u32_e32 v35, vcc_lo, 0, v9, vcc_lo
	s_delay_alu instid0(VALU_DEP_1)
	v_cmp_lt_u64_e32 vcc_lo, v[36:37], v[34:35]
	v_mov_b32_e32 v36, 1
	s_and_saveexec_b32 s18, vcc_lo
	s_cbranch_execz .LBB2_605
; %bb.594:                              ;   in Loop: Header=BB2_454 Depth=1
	v_mov_b32_e32 v36, 0
	s_mov_b32 s19, 0
                                        ; implicit-def: $sgpr20
	s_branch .LBB2_598
.LBB2_595:                              ;   in Loop: Header=BB2_598 Depth=2
	s_or_b32 exec_lo, exec_lo, s24
	v_mov_b32_e32 v37, 0
	s_or_not1_b32 s23, s23, exec_lo
.LBB2_596:                              ;   in Loop: Header=BB2_598 Depth=2
	s_or_b32 exec_lo, exec_lo, s22
	s_delay_alu instid0(VALU_DEP_1) | instskip(SKIP_2) | instid1(SALU_CYCLE_1)
	v_mov_b32_e32 v36, v37
	s_and_not1_b32 s20, s20, exec_lo
	s_and_b32 s22, s23, exec_lo
	s_or_b32 s20, s20, s22
.LBB2_597:                              ;   in Loop: Header=BB2_598 Depth=2
	s_or_b32 exec_lo, exec_lo, s21
	s_waitcnt vmcnt(0) lgkmcnt(0)
	v_add_co_u32 v82, vcc_lo, v20, 8
	v_add_co_ci_u32_e32 v83, vcc_lo, 0, v21, vcc_lo
	s_xor_b32 s21, s20, -1
	s_delay_alu instid0(VALU_DEP_1) | instskip(SKIP_1) | instid1(SALU_CYCLE_1)
	v_cmp_ge_u64_e32 vcc_lo, v[82:83], v[34:35]
	s_or_b32 s21, s21, vcc_lo
	s_and_b32 s21, exec_lo, s21
	s_delay_alu instid0(SALU_CYCLE_1) | instskip(NEXT) | instid1(SALU_CYCLE_1)
	s_or_b32 s19, s21, s19
	s_and_not1_b32 exec_lo, exec_lo, s19
	s_cbranch_execz .LBB2_604
.LBB2_598:                              ;   Parent Loop BB2_454 Depth=1
                                        ; =>  This Inner Loop Header: Depth=2
	s_sleep 1
	flat_load_b64 v[20:21], v[16:17] glc
	v_and_b32_e32 v37, 64, v48
	s_and_not1_b32 s20, s20, exec_lo
	s_mov_b32 s21, exec_lo
	s_delay_alu instid0(VALU_DEP_1)
	v_cmpx_eq_u32_e32 0, v37
	s_cbranch_execz .LBB2_597
; %bb.599:                              ;   in Loop: Header=BB2_598 Depth=2
	v_add_nc_u32_e32 v37, 1, v36
	s_mov_b32 s23, -1
	s_mov_b32 s22, exec_lo
	v_cmpx_lt_i32_e32 0x270e, v36
	s_cbranch_execz .LBB2_596
; %bb.600:                              ;   in Loop: Header=BB2_598 Depth=2
	s_cbranch_execnz .LBB2_737
; %bb.601:                              ;   in Loop: Header=BB2_598 Depth=2
	ds_load_b64 v[36:37], v0
	s_mov_b32 s24, exec_lo
	s_waitcnt vmcnt(0) lgkmcnt(0)
	s_waitcnt_vscnt null, 0x0
	flat_load_b32 v36, v[36:37] glc
	s_waitcnt vmcnt(0) lgkmcnt(0)
	buffer_gl1_inv
	buffer_gl0_inv
	v_cmpx_ne_u32_e32 0, v36
	s_cbranch_execz .LBB2_595
; %bb.602:                              ;   in Loop: Header=BB2_598 Depth=2
	ds_store_b32 v0, v36
	s_cbranch_execnz .LBB2_774
; %bb.603:                              ;   in Loop: Header=BB2_598 Depth=2
	v_or_b32_e32 v48, 64, v48
	s_xor_b32 s23, exec_lo, -1
	s_branch .LBB2_595
.LBB2_604:                              ;   in Loop: Header=BB2_454 Depth=1
	s_or_b32 exec_lo, exec_lo, s19
	v_and_b32_e32 v36, 8, v48
.LBB2_605:                              ;   in Loop: Header=BB2_454 Depth=1
	s_or_b32 exec_lo, exec_lo, s18
	s_delay_alu instid0(VALU_DEP_1)
	v_cmp_eq_u32_e32 vcc_lo, 0, v36
	;;#ASMSTART
	s_wakeup
	;;#ASMEND
	s_or_not1_b32 s18, vcc_lo, exec_lo
.LBB2_606:                              ;   in Loop: Header=BB2_454 Depth=1
	s_or_b32 exec_lo, exec_lo, s10
	v_sub_nc_u32_e32 v24, v24, v25
	s_xor_b32 s18, s18, -1
	s_delay_alu instid0(VALU_DEP_1)
	v_min_i32_e32 v24, v38, v24
	s_and_saveexec_b32 s10, s18
	s_cbranch_execz .LBB2_614
; %bb.607:                              ;   in Loop: Header=BB2_454 Depth=1
	v_and_b32_e32 v25, 0x100, v48
	v_and_b32_e32 v34, 7, v8
	s_mov_b32 s19, 0
	s_mov_b32 s18, exec_lo
                                        ; implicit-def: $vgpr36_vgpr37
	s_delay_alu instid0(VALU_DEP_2)
	v_cmpx_ne_u32_e32 0, v25
	s_xor_b32 s18, exec_lo, s18
	s_cbranch_execnz .LBB2_622
; %bb.608:                              ;   in Loop: Header=BB2_454 Depth=1
	s_and_not1_saveexec_b32 s18, s18
	s_cbranch_execnz .LBB2_625
.LBB2_609:                              ;   in Loop: Header=BB2_454 Depth=1
	s_or_b32 exec_lo, exec_lo, s18
	s_and_saveexec_b32 s18, s19
.LBB2_610:                              ;   in Loop: Header=BB2_454 Depth=1
	v_mul_lo_u32 v25, v26, v50
	v_mul_lo_u32 v35, v34, v51
	v_mad_u64_u32 v[36:37], null, v34, v50, 0
	s_delay_alu instid0(VALU_DEP_1)
	v_add3_u32 v37, v37, v35, v25
.LBB2_611:                              ;   in Loop: Header=BB2_454 Depth=1
	s_or_b32 exec_lo, exec_lo, s18
	s_delay_alu instid0(VALU_DEP_1) | instskip(SKIP_2) | instid1(VALU_DEP_2)
	v_lshlrev_b64 v[34:35], 2, v[36:37]
	v_and_b32_e32 v25, 0x2000, v48
	s_mov_b32 s18, exec_lo
	v_add_co_u32 v34, vcc_lo, v18, v34
	s_delay_alu instid0(VALU_DEP_3)
	v_add_co_ci_u32_e32 v35, vcc_lo, v19, v35, vcc_lo
	ds_store_b64 v0, v[34:35] offset:784
	v_cmpx_ne_u32_e32 0, v25
	s_cbranch_execz .LBB2_613
; %bb.612:                              ;   in Loop: Header=BB2_454 Depth=1
	ds_load_b64 v[34:35], v0 offset:584
	s_waitcnt lgkmcnt(0)
	v_add_co_u32 v34, vcc_lo, v34, 1
	v_add_co_ci_u32_e32 v35, vcc_lo, 0, v35, vcc_lo
	ds_store_b64 v0, v[34:35] offset:584
.LBB2_613:                              ;   in Loop: Header=BB2_454 Depth=1
	s_or_b32 exec_lo, exec_lo, s18
	v_add_co_u32 v8, vcc_lo, v8, 1
	v_add_co_ci_u32_e32 v9, vcc_lo, 0, v9, vcc_lo
.LBB2_614:                              ;   in Loop: Header=BB2_454 Depth=1
	s_or_b32 exec_lo, exec_lo, s10
	s_and_saveexec_b32 s10, s2
	s_cbranch_execz .LBB2_640
; %bb.615:                              ;   in Loop: Header=BB2_454 Depth=1
	s_and_saveexec_b32 s18, s3
	s_delay_alu instid0(SALU_CYCLE_1)
	s_xor_b32 s18, exec_lo, s18
	s_cbranch_execz .LBB2_637
; %bb.616:                              ;   in Loop: Header=BB2_454 Depth=1
	s_and_saveexec_b32 s19, s4
	s_cbranch_execz .LBB2_636
; %bb.617:                              ;   in Loop: Header=BB2_454 Depth=1
	s_mov_b32 s21, exec_lo
	s_mov_b32 s20, exec_lo
	v_mbcnt_lo_u32_b32 v25, s21, 0
	s_waitcnt lgkmcnt(0)
	s_waitcnt_vscnt null, 0x0
	buffer_gl1_inv
	buffer_gl0_inv
	v_cmpx_eq_u32_e32 0, v25
	s_cbranch_execz .LBB2_619
; %bb.618:                              ;   in Loop: Header=BB2_454 Depth=1
	s_bcnt1_i32_b32 s21, s21
	s_delay_alu instid0(SALU_CYCLE_1)
	v_mov_b32_e32 v25, s21
	ds_add_u64 v0, v[25:26]
	s_cbranch_execnz .LBB2_790
.LBB2_619:                              ;   in Loop: Header=BB2_454 Depth=1
	s_or_b32 exec_lo, exec_lo, s20
	s_cbranch_execnz .LBB2_778
; %bb.620:                              ;   in Loop: Header=BB2_454 Depth=1
	ds_load_b64 v[34:35], v0
	v_add_co_u32 v10, vcc_lo, v10, v52
	v_add_co_ci_u32_e32 v11, vcc_lo, 0, v11, vcc_lo
	s_mov_b32 s20, exec_lo
	s_waitcnt lgkmcnt(0)
	s_delay_alu instid0(VALU_DEP_1)
	v_cmpx_lt_u64_e64 v[34:35], v[10:11]
	s_cbranch_execz .LBB2_635
; %bb.621:                              ;   in Loop: Header=BB2_454 Depth=1
	s_mov_b32 s21, 0
	s_mov_b32 s24, 0
                                        ; implicit-def: $sgpr22
                                        ; implicit-def: $sgpr23
	s_branch .LBB2_627
.LBB2_622:                              ;   in Loop: Header=BB2_454 Depth=1
	v_mad_u64_u32 v[38:39], null, v34, 24, v[6:7]
	v_ashrrev_i32_e32 v25, 31, v24
	s_mov_b32 s19, -1
	s_delay_alu instid0(VALU_DEP_1)
	v_lshlrev_b64 v[35:36], 2, v[24:25]
	flat_load_b32 v37, v[38:39]
	flat_store_b64 v[38:39], v[35:36] offset:8
	s_waitcnt vmcnt(0) lgkmcnt(1)
	v_cmp_eq_u32_e32 vcc_lo, 1, v37
                                        ; implicit-def: $vgpr36_vgpr37
	s_and_saveexec_b32 s20, vcc_lo
	s_cbranch_execz .LBB2_624
; %bb.623:                              ;   in Loop: Header=BB2_454 Depth=1
	flat_load_b32 v34, v[38:39] offset:4 glc
	s_xor_b32 s19, exec_lo, -1
	s_waitcnt vmcnt(0) lgkmcnt(0)
	v_ashrrev_i32_e32 v35, 31, v34
	s_delay_alu instid0(VALU_DEP_1)
	v_lshrrev_b64 v[36:37], 2, v[34:35]
                                        ; implicit-def: $vgpr34_vgpr35
.LBB2_624:                              ;   in Loop: Header=BB2_454 Depth=1
	s_or_b32 exec_lo, exec_lo, s20
	s_delay_alu instid0(SALU_CYCLE_1)
	s_and_b32 s19, s19, exec_lo
	s_and_not1_saveexec_b32 s18, s18
	s_cbranch_execz .LBB2_609
.LBB2_625:                              ;   in Loop: Header=BB2_454 Depth=1
	s_or_b32 s19, s19, exec_lo
                                        ; implicit-def: $vgpr36_vgpr37
	s_or_b32 exec_lo, exec_lo, s18
	s_and_saveexec_b32 s18, s19
	s_cbranch_execnz .LBB2_610
	s_branch .LBB2_611
.LBB2_626:                              ;   in Loop: Header=BB2_627 Depth=2
	s_or_b32 exec_lo, exec_lo, s27
	s_delay_alu instid0(SALU_CYCLE_1) | instskip(NEXT) | instid1(SALU_CYCLE_1)
	s_and_b32 s25, exec_lo, s26
	s_or_b32 s21, s25, s21
	s_and_not1_b32 s22, s22, exec_lo
	s_and_b32 s25, s23, exec_lo
	s_delay_alu instid0(SALU_CYCLE_1)
	s_or_b32 s22, s22, s25
	s_and_not1_b32 exec_lo, exec_lo, s21
	s_cbranch_execz .LBB2_633
.LBB2_627:                              ;   Parent Loop BB2_454 Depth=1
                                        ; =>  This Inner Loop Header: Depth=2
	s_add_i32 s24, s24, 1
                                        ; implicit-def: $sgpr26
	s_delay_alu instid0(SALU_CYCLE_1) | instskip(SKIP_1) | instid1(SALU_CYCLE_1)
	s_cmpk_lg_i32 s24, 0x2710
	s_cselect_b32 s25, -1, 0
	s_and_b32 vcc_lo, exec_lo, s25
	s_cbranch_vccz .LBB2_631
.LBB2_628:                              ;   in Loop: Header=BB2_627 Depth=2
	s_and_not1_b32 s23, s23, exec_lo
	s_and_b32 s27, s26, exec_lo
	s_mov_b32 s26, -1
	s_or_b32 s23, s23, s27
	s_and_saveexec_b32 s27, s25
	s_cbranch_execz .LBB2_626
; %bb.629:                              ;   in Loop: Header=BB2_627 Depth=2
	s_sleep 1
	s_cbranch_execnz .LBB2_826
; %bb.630:                              ;   in Loop: Header=BB2_627 Depth=2
	ds_load_b64 v[34:35], v0
	s_and_not1_b32 s23, s23, exec_lo
	s_waitcnt lgkmcnt(0)
	v_cmp_ge_u64_e32 vcc_lo, v[34:35], v[10:11]
	s_or_not1_b32 s26, vcc_lo, exec_lo
	s_branch .LBB2_626
.LBB2_631:                              ;   in Loop: Header=BB2_627 Depth=2
	s_cbranch_execnz .LBB2_830
; %bb.632:                              ;   in Loop: Header=BB2_627 Depth=2
	ds_load_b64 v[34:35], v0
	s_and_not1_b32 s25, s25, exec_lo
	s_mov_b32 s24, 0
	s_mov_b32 s26, -1
	s_waitcnt lgkmcnt(0)
	flat_load_b32 v25, v[34:35] glc
	s_waitcnt vmcnt(0) lgkmcnt(0)
	buffer_gl1_inv
	buffer_gl0_inv
	v_cmp_eq_u32_e32 vcc_lo, 0, v25
	s_and_b32 s27, vcc_lo, exec_lo
	s_delay_alu instid0(SALU_CYCLE_1)
	s_or_b32 s25, s25, s27
	s_branch .LBB2_628
.LBB2_633:                              ;   in Loop: Header=BB2_454 Depth=1
	s_or_b32 exec_lo, exec_lo, s21
	s_and_saveexec_b32 s21, s22
	s_delay_alu instid0(SALU_CYCLE_1)
	s_xor_b32 s21, exec_lo, s21
	s_cbranch_execz .LBB2_635
; %bb.634:                              ;   in Loop: Header=BB2_454 Depth=1
	ds_store_b32 v0, v81
	s_cbranch_execnz .LBB2_920
.LBB2_635:                              ;   in Loop: Header=BB2_454 Depth=1
	s_or_b32 exec_lo, exec_lo, s20
	;;#ASMSTART
	s_wakeup
	;;#ASMEND
.LBB2_636:                              ;   in Loop: Header=BB2_454 Depth=1
	s_or_b32 exec_lo, exec_lo, s19
.LBB2_637:                              ;   in Loop: Header=BB2_454 Depth=1
	s_and_not1_saveexec_b32 s18, s18
	s_cbranch_execz .LBB2_639
; %bb.638:                              ;   in Loop: Header=BB2_454 Depth=1
	s_waitcnt lgkmcnt(0)
	s_waitcnt_vscnt null, 0x0
	buffer_gl1_inv
	buffer_gl0_inv
	s_barrier
.LBB2_639:                              ;   in Loop: Header=BB2_454 Depth=1
	s_or_b32 exec_lo, exec_lo, s18
.LBB2_640:                              ;   in Loop: Header=BB2_454 Depth=1
	s_delay_alu instid0(SALU_CYCLE_1)
	s_or_b32 exec_lo, exec_lo, s10
	s_cbranch_execnz .LBB2_723
; %bb.641:                              ;   in Loop: Header=BB2_454 Depth=1
	ds_load_b32 v25, v0
	v_cmp_lt_i32_e32 vcc_lo, 0, v24
	s_waitcnt lgkmcnt(0)
	v_readfirstlane_b32 s10, v25
	v_and_b32_e32 v25, 16, v48
	s_delay_alu instid0(VALU_DEP_2) | instskip(NEXT) | instid1(VALU_DEP_1)
	s_cmp_eq_u32 s10, 0
	v_cmp_ne_u32_e64 s10, 0, v25
	s_cselect_b32 s18, -1, 0
	s_delay_alu instid0(SALU_CYCLE_1)
	s_and_b32 s18, vcc_lo, s18
	s_delay_alu instid0(VALU_DEP_1) | instid1(SALU_CYCLE_1)
	s_and_b32 s18, s10, s18
	s_delay_alu instid0(SALU_CYCLE_1)
	s_and_saveexec_b32 s10, s18
	s_cbranch_execz .LBB2_643
; %bb.642:                              ;   in Loop: Header=BB2_454 Depth=1
	s_waitcnt_vscnt null, 0x0
	buffer_gl1_inv
	buffer_gl0_inv
.LBB2_643:                              ;   in Loop: Header=BB2_454 Depth=1
	s_or_b32 exec_lo, exec_lo, s10
	s_delay_alu instid0(SALU_CYCLE_1)
	s_mov_b32 s10, exec_lo
	v_cmpx_ne_u32_e32 0, v25
	s_cbranch_execz .LBB2_647
; %bb.644:                              ;   in Loop: Header=BB2_454 Depth=1
	s_and_saveexec_b32 s18, s7
	s_cbranch_execz .LBB2_646
; %bb.645:                              ;   in Loop: Header=BB2_454 Depth=1
	s_waitcnt_vscnt null, 0x0
	flat_store_b32 v[22:23], v81
.LBB2_646:                              ;   in Loop: Header=BB2_454 Depth=1
	s_or_b32 exec_lo, exec_lo, s18
	v_add_co_u32 v8, vcc_lo, v8, 1
	v_add_co_ci_u32_e32 v9, vcc_lo, 0, v9, vcc_lo
	s_waitcnt lgkmcnt(0)
	s_waitcnt_vscnt null, 0x0
	flat_store_b64 v[16:17], v[8:9]
.LBB2_647:                              ;   in Loop: Header=BB2_454 Depth=1
	s_or_b32 exec_lo, exec_lo, s10
.LBB2_648:                              ;   in Loop: Header=BB2_454 Depth=1
	s_delay_alu instid0(SALU_CYCLE_1) | instskip(SKIP_2) | instid1(VALU_DEP_1)
	s_or_b32 exec_lo, exec_lo, s11
	v_add_co_u32 v29, vcc_lo, v29, v12
	v_add_co_ci_u32_e32 v30, vcc_lo, 0, v30, vcc_lo
	v_cmp_ge_u64_e32 vcc_lo, v[29:30], v[4:5]
	s_or_b32 s14, vcc_lo, s14
	s_delay_alu instid0(SALU_CYCLE_1)
	s_and_not1_b32 exec_lo, exec_lo, s14
	s_cbranch_execnz .LBB2_454
; %bb.649:
	s_or_b32 exec_lo, exec_lo, s14
.LBB2_650:
	s_delay_alu instid0(SALU_CYCLE_1)
	s_or_b32 exec_lo, exec_lo, s15
.LBB2_651:
	s_delay_alu instid0(SALU_CYCLE_1) | instskip(SKIP_2) | instid1(VALU_DEP_1)
	s_or_b32 exec_lo, exec_lo, s12
	v_and_b32_e32 v0, 0x800, v48
	s_mov_b32 s0, exec_lo
	v_cmpx_eq_u32_e32 0, v0
	s_cbranch_execz .LBB2_874
; %bb.652:
	v_and_b32_e32 v0, 48, v48
	s_mov_b32 s1, exec_lo
	s_delay_alu instid0(VALU_DEP_1)
	v_cmpx_ne_u32_e32 0, v0
	s_cbranch_execz .LBB2_654
; %bb.653:
	s_waitcnt lgkmcnt(0)
	flat_store_b64 v[14:15], v[8:9] offset:104
.LBB2_654:
	s_or_b32 exec_lo, exec_lo, s1
	v_and_b32_e32 v0, 0x88, v48
	s_mov_b32 s1, exec_lo
	s_delay_alu instid0(VALU_DEP_1)
	v_cmpx_eq_u32_e32 0x88, v0
	s_cbranch_execz .LBB2_704
; %bb.655:
	s_waitcnt lgkmcnt(0)
	v_add_nc_u32_e32 v0, -1, v8
	s_mov_b32 s2, 0
                                        ; implicit-def: $sgpr3
	s_delay_alu instid0(VALU_DEP_1) | instskip(NEXT) | instid1(VALU_DEP_1)
	v_and_b32_e32 v0, 7, v0
	v_mad_u64_u32 v[4:5], null, v0, 24, v[6:7]
	v_mov_b32_e32 v0, 0
	s_delay_alu instid0(VALU_DEP_2) | instskip(NEXT) | instid1(VALU_DEP_3)
	v_add_co_u32 v4, vcc_lo, v4, 8
	v_add_co_ci_u32_e32 v5, vcc_lo, 0, v5, vcc_lo
	s_branch .LBB2_688
.LBB2_656:
	s_trap 2
	s_sendmsg_rtn_b32 s0, sendmsg(MSG_RTN_GET_DOORBELL)
	s_mov_b32 ttmp2, m0
	s_waitcnt lgkmcnt(0)
	s_and_b32 s0, s0, 0x3ff
	s_delay_alu instid0(SALU_CYCLE_1) | instskip(NEXT) | instid1(SALU_CYCLE_1)
	s_bitset1_b32 s0, 10
	s_mov_b32 m0, s0
	s_sendmsg sendmsg(MSG_INTERRUPT)
	s_mov_b32 m0, ttmp2
.LBB2_657:                              ; =>This Inner Loop Header: Depth=1
	s_sethalt 5
	s_branch .LBB2_657
.LBB2_658:
	v_bfe_u32 v10, v6, 8, 8
	v_not_b32_e32 v8, v8
	s_mov_b32 s1, exec_lo
                                        ; implicit-def: $vgpr29_vgpr30
                                        ; implicit-def: $vgpr4_vgpr5
                                        ; implicit-def: $vgpr24_vgpr25
	s_delay_alu instid0(VALU_DEP_2)
	v_cmpx_ne_u32_e64 v10, v9
	s_xor_b32 s1, exec_lo, s1
	s_cbranch_execz .LBB2_660
; %bb.659:
	s_clause 0x1
	flat_load_b128 v[4:7], v[2:3] offset:72
	flat_load_b64 v[10:11], v[2:3] offset:96
	v_add_nc_u32_e32 v8, v9, v8
	s_delay_alu instid0(VALU_DEP_1) | instskip(SKIP_1) | instid1(VALU_DEP_1)
	v_ashrrev_i32_e32 v9, 31, v8
	s_waitcnt vmcnt(1) lgkmcnt(1)
	v_mul_lo_u32 v9, v6, v9
	v_mad_u64_u32 v[24:25], null, v6, v8, v[4:5]
	v_mul_lo_u32 v4, v7, v8
	s_waitcnt vmcnt(0) lgkmcnt(0)
	v_lshrrev_b64 v[29:30], 14, v[10:11]
                                        ; implicit-def: $vgpr10
                                        ; implicit-def: $vgpr8
	s_delay_alu instid0(VALU_DEP_2)
	v_add3_u32 v25, v4, v25, v9
	v_dual_mov_b32 v4, v6 :: v_dual_mov_b32 v5, v7
.LBB2_660:
	s_and_not1_saveexec_b32 s1, s1
	s_cbranch_execz .LBB2_662
; %bb.661:
	s_clause 0x1
	flat_load_b128 v[11:14], v[2:3] offset:72
	flat_load_b128 v[4:7], v[2:3] offset:88
	s_waitcnt vmcnt(0) lgkmcnt(0)
	v_add_nc_u32_e32 v6, v10, v8
	s_delay_alu instid0(VALU_DEP_1) | instskip(NEXT) | instid1(VALU_DEP_1)
	v_ashrrev_i32_e32 v8, 31, v6
	v_mul_lo_u32 v8, v13, v8
	v_mad_u64_u32 v[24:25], null, v13, v6, v[11:12]
	v_mul_lo_u32 v6, v14, v6
	v_lshrrev_b32_e32 v29, 3, v7
	s_delay_alu instid0(VALU_DEP_2)
	v_add3_u32 v25, v6, v25, v8
.LBB2_662:
	s_or_b32 exec_lo, exec_lo, s1
	s_and_not1_saveexec_b32 s0, s0
	s_cbranch_execz .LBB2_3
.LBB2_663:
	s_clause 0x1
	flat_load_b64 v[6:7], v[2:3] offset:96
	flat_load_b64 v[4:5], v[2:3] offset:72
	v_mov_b32_e32 v24, 0
	v_mov_b32_e32 v25, 0
	s_waitcnt vmcnt(1) lgkmcnt(1)
	v_lshlrev_b64 v[29:30], 7, v[6:7]
	s_or_b32 exec_lo, exec_lo, s0
	s_cbranch_execz .LBB2_4
.LBB2_664:
	s_trap 2
	s_sendmsg_rtn_b32 s0, sendmsg(MSG_RTN_GET_DOORBELL)
	s_mov_b32 ttmp2, m0
	s_waitcnt lgkmcnt(0)
	s_and_b32 s0, s0, 0x3ff
	s_delay_alu instid0(SALU_CYCLE_1) | instskip(NEXT) | instid1(SALU_CYCLE_1)
	s_bitset1_b32 s0, 10
	s_mov_b32 m0, s0
	s_sendmsg sendmsg(MSG_INTERRUPT)
	s_mov_b32 m0, ttmp2
.LBB2_665:                              ; =>This Inner Loop Header: Depth=1
	s_sethalt 5
	s_branch .LBB2_665
.LBB2_666:
	s_trap 2
	s_sendmsg_rtn_b32 s0, sendmsg(MSG_RTN_GET_DOORBELL)
	s_mov_b32 ttmp2, m0
	s_waitcnt lgkmcnt(0)
	s_and_b32 s0, s0, 0x3ff
	s_delay_alu instid0(SALU_CYCLE_1) | instskip(NEXT) | instid1(SALU_CYCLE_1)
	s_bitset1_b32 s0, 10
	s_mov_b32 m0, s0
	s_sendmsg sendmsg(MSG_INTERRUPT)
	s_mov_b32 m0, ttmp2
.LBB2_667:                              ; =>This Inner Loop Header: Depth=1
	s_sethalt 5
	s_branch .LBB2_667
.LBB2_668:
	s_trap 2
	s_sendmsg_rtn_b32 s0, sendmsg(MSG_RTN_GET_DOORBELL)
	s_mov_b32 ttmp2, m0
	s_waitcnt lgkmcnt(0)
	s_and_b32 s0, s0, 0x3ff
	s_delay_alu instid0(SALU_CYCLE_1) | instskip(NEXT) | instid1(SALU_CYCLE_1)
	s_bitset1_b32 s0, 10
	s_mov_b32 m0, s0
	s_sendmsg sendmsg(MSG_INTERRUPT)
	s_mov_b32 m0, ttmp2
.LBB2_669:                              ; =>This Inner Loop Header: Depth=1
	s_sethalt 5
	s_branch .LBB2_669
.LBB2_670:
	s_trap 2
	s_sendmsg_rtn_b32 s0, sendmsg(MSG_RTN_GET_DOORBELL)
	s_mov_b32 ttmp2, m0
	s_waitcnt lgkmcnt(0)
	s_and_b32 s0, s0, 0x3ff
	s_delay_alu instid0(SALU_CYCLE_1) | instskip(NEXT) | instid1(SALU_CYCLE_1)
	s_bitset1_b32 s0, 10
	s_mov_b32 m0, s0
	s_sendmsg sendmsg(MSG_INTERRUPT)
	s_mov_b32 m0, ttmp2
.LBB2_671:                              ; =>This Inner Loop Header: Depth=1
	s_sethalt 5
	s_branch .LBB2_671
.LBB2_672:
	s_trap 2
	s_sendmsg_rtn_b32 s0, sendmsg(MSG_RTN_GET_DOORBELL)
	s_mov_b32 ttmp2, m0
	s_waitcnt lgkmcnt(0)
	s_and_b32 s0, s0, 0x3ff
	s_delay_alu instid0(SALU_CYCLE_1) | instskip(NEXT) | instid1(SALU_CYCLE_1)
	s_bitset1_b32 s0, 10
	s_mov_b32 m0, s0
	s_sendmsg sendmsg(MSG_INTERRUPT)
	s_mov_b32 m0, ttmp2
.LBB2_673:                              ; =>This Inner Loop Header: Depth=1
	s_sethalt 5
	s_branch .LBB2_673
.LBB2_674:
	s_trap 2
	s_sendmsg_rtn_b32 s0, sendmsg(MSG_RTN_GET_DOORBELL)
	s_mov_b32 ttmp2, m0
	s_waitcnt lgkmcnt(0)
	s_and_b32 s0, s0, 0x3ff
	s_delay_alu instid0(SALU_CYCLE_1) | instskip(NEXT) | instid1(SALU_CYCLE_1)
	s_bitset1_b32 s0, 10
	s_mov_b32 m0, s0
	s_sendmsg sendmsg(MSG_INTERRUPT)
	s_mov_b32 m0, ttmp2
.LBB2_675:                              ; =>This Inner Loop Header: Depth=1
	s_sethalt 5
	s_branch .LBB2_675
.LBB2_676:
	s_trap 2
	s_sendmsg_rtn_b32 s0, sendmsg(MSG_RTN_GET_DOORBELL)
	s_mov_b32 ttmp2, m0
	s_waitcnt lgkmcnt(0)
	s_and_b32 s0, s0, 0x3ff
	s_delay_alu instid0(SALU_CYCLE_1) | instskip(NEXT) | instid1(SALU_CYCLE_1)
	s_bitset1_b32 s0, 10
	s_mov_b32 m0, s0
	s_sendmsg sendmsg(MSG_INTERRUPT)
	s_mov_b32 m0, ttmp2
.LBB2_677:                              ; =>This Inner Loop Header: Depth=1
	s_sethalt 5
	s_branch .LBB2_677
.LBB2_678:
	s_trap 2
	s_sendmsg_rtn_b32 s0, sendmsg(MSG_RTN_GET_DOORBELL)
	s_mov_b32 ttmp2, m0
	s_waitcnt lgkmcnt(0)
	s_and_b32 s0, s0, 0x3ff
	s_delay_alu instid0(SALU_CYCLE_1) | instskip(NEXT) | instid1(SALU_CYCLE_1)
	s_bitset1_b32 s0, 10
	s_mov_b32 m0, s0
	s_sendmsg sendmsg(MSG_INTERRUPT)
	s_mov_b32 m0, ttmp2
.LBB2_679:                              ; =>This Inner Loop Header: Depth=1
	s_sethalt 5
	s_branch .LBB2_679
.LBB2_680:
	s_trap 2
	s_sendmsg_rtn_b32 s0, sendmsg(MSG_RTN_GET_DOORBELL)
	s_mov_b32 ttmp2, m0
	s_waitcnt lgkmcnt(0)
	s_and_b32 s0, s0, 0x3ff
	s_delay_alu instid0(SALU_CYCLE_1) | instskip(NEXT) | instid1(SALU_CYCLE_1)
	s_bitset1_b32 s0, 10
	s_mov_b32 m0, s0
	s_sendmsg sendmsg(MSG_INTERRUPT)
	s_mov_b32 m0, ttmp2
.LBB2_681:                              ; =>This Inner Loop Header: Depth=1
	s_sethalt 5
	s_branch .LBB2_681
.LBB2_682:
	s_trap 2
	s_sendmsg_rtn_b32 s0, sendmsg(MSG_RTN_GET_DOORBELL)
	s_mov_b32 ttmp2, m0
	s_waitcnt lgkmcnt(0)
	s_and_b32 s0, s0, 0x3ff
	s_delay_alu instid0(SALU_CYCLE_1) | instskip(NEXT) | instid1(SALU_CYCLE_1)
	s_bitset1_b32 s0, 10
	s_mov_b32 m0, s0
	s_sendmsg sendmsg(MSG_INTERRUPT)
	s_mov_b32 m0, ttmp2
.LBB2_683:                              ; =>This Inner Loop Header: Depth=1
	s_sethalt 5
	s_branch .LBB2_683
.LBB2_684:                              ;   in Loop: Header=BB2_688 Depth=1
	s_or_b32 exec_lo, exec_lo, s10
	v_mov_b32_e32 v6, 0
	s_or_not1_b32 s7, s7, exec_lo
.LBB2_685:                              ;   in Loop: Header=BB2_688 Depth=1
	s_or_b32 exec_lo, exec_lo, s6
	s_delay_alu instid0(VALU_DEP_1)
	v_mov_b32_e32 v0, v6
	s_and_b32 s6, s7, exec_lo
.LBB2_686:                              ;   in Loop: Header=BB2_688 Depth=1
	s_or_b32 exec_lo, exec_lo, s5
	s_xor_b32 s5, s6, -1
	s_and_not1_b32 s3, s3, exec_lo
	s_and_b32 s5, s5, exec_lo
	s_delay_alu instid0(SALU_CYCLE_1)
	s_or_b32 s3, s3, s5
.LBB2_687:                              ;   in Loop: Header=BB2_688 Depth=1
	s_or_b32 exec_lo, exec_lo, s4
	s_delay_alu instid0(SALU_CYCLE_1) | instskip(NEXT) | instid1(SALU_CYCLE_1)
	s_and_b32 s4, exec_lo, s3
	s_or_b32 s2, s4, s2
	s_delay_alu instid0(SALU_CYCLE_1)
	s_and_not1_b32 exec_lo, exec_lo, s2
	s_cbranch_execz .LBB2_703
.LBB2_688:                              ; =>This Inner Loop Header: Depth=1
	flat_load_b64 v[6:7], v[4:5] glc dlc
	s_waitcnt vmcnt(0)
	s_or_b32 s3, s3, exec_lo
	s_mov_b32 s4, exec_lo
	s_waitcnt lgkmcnt(0)
	v_cmpx_ne_u64_e32 -1, v[6:7]
	s_cbranch_execz .LBB2_687
; %bb.689:                              ;   in Loop: Header=BB2_688 Depth=1
	v_and_b32_e32 v6, 64, v48
	s_mov_b32 s6, 0
	s_mov_b32 s5, exec_lo
	s_delay_alu instid0(VALU_DEP_1)
	v_cmpx_eq_u32_e32 0, v6
	s_cbranch_execz .LBB2_686
; %bb.690:                              ;   in Loop: Header=BB2_688 Depth=1
	v_add_nc_u32_e32 v6, 1, v0
	s_mov_b32 s7, -1
	s_mov_b32 s6, exec_lo
	v_cmpx_lt_i32_e32 0x270e, v0
	s_cbranch_execz .LBB2_685
; %bb.691:                              ;   in Loop: Header=BB2_688 Depth=1
	s_cbranch_execnz .LBB2_695
; %bb.692:                              ;   in Loop: Header=BB2_688 Depth=1
	ds_load_b64 v[6:7], v0
	s_mov_b32 s10, exec_lo
	s_waitcnt lgkmcnt(0)
	s_waitcnt_vscnt null, 0x0
	flat_load_b32 v0, v[6:7] glc
	s_waitcnt vmcnt(0) lgkmcnt(0)
	buffer_gl1_inv
	buffer_gl0_inv
	v_cmpx_ne_u32_e32 0, v0
	s_cbranch_execz .LBB2_684
; %bb.693:                              ;   in Loop: Header=BB2_688 Depth=1
	ds_store_b32 v0, v0
	s_cbranch_execnz .LBB2_717
; %bb.694:                              ;   in Loop: Header=BB2_688 Depth=1
	v_or_b32_e32 v48, 64, v48
	s_xor_b32 s7, exec_lo, -1
	s_branch .LBB2_684
.LBB2_695:
	s_trap 2
	s_sendmsg_rtn_b32 s0, sendmsg(MSG_RTN_GET_DOORBELL)
	s_mov_b32 ttmp2, m0
	s_waitcnt lgkmcnt(0)
	s_and_b32 s0, s0, 0x3ff
	s_delay_alu instid0(SALU_CYCLE_1) | instskip(NEXT) | instid1(SALU_CYCLE_1)
	s_bitset1_b32 s0, 10
	s_mov_b32 m0, s0
	s_sendmsg sendmsg(MSG_INTERRUPT)
	s_mov_b32 m0, ttmp2
.LBB2_696:                              ; =>This Inner Loop Header: Depth=1
	s_sethalt 5
	s_branch .LBB2_696
.LBB2_697:
	s_trap 2
	s_sendmsg_rtn_b32 s0, sendmsg(MSG_RTN_GET_DOORBELL)
	s_mov_b32 ttmp2, m0
	s_waitcnt lgkmcnt(0)
	s_and_b32 s0, s0, 0x3ff
	s_delay_alu instid0(SALU_CYCLE_1) | instskip(NEXT) | instid1(SALU_CYCLE_1)
	s_bitset1_b32 s0, 10
	s_mov_b32 m0, s0
	s_sendmsg sendmsg(MSG_INTERRUPT)
	s_mov_b32 m0, ttmp2
.LBB2_698:                              ; =>This Inner Loop Header: Depth=1
	s_sethalt 5
	s_branch .LBB2_698
.LBB2_699:
	s_trap 2
	s_sendmsg_rtn_b32 s0, sendmsg(MSG_RTN_GET_DOORBELL)
	s_mov_b32 ttmp2, m0
	s_waitcnt lgkmcnt(0)
	s_and_b32 s0, s0, 0x3ff
	s_delay_alu instid0(SALU_CYCLE_1) | instskip(NEXT) | instid1(SALU_CYCLE_1)
	s_bitset1_b32 s0, 10
	s_mov_b32 m0, s0
	s_sendmsg sendmsg(MSG_INTERRUPT)
	s_mov_b32 m0, ttmp2
.LBB2_700:                              ; =>This Inner Loop Header: Depth=1
	s_sethalt 5
	s_branch .LBB2_700
.LBB2_701:
	s_trap 2
	s_sendmsg_rtn_b32 s0, sendmsg(MSG_RTN_GET_DOORBELL)
	s_mov_b32 ttmp2, m0
	s_waitcnt lgkmcnt(0)
	s_and_b32 s0, s0, 0x3ff
	s_delay_alu instid0(SALU_CYCLE_1) | instskip(NEXT) | instid1(SALU_CYCLE_1)
	s_bitset1_b32 s0, 10
	s_mov_b32 m0, s0
	s_sendmsg sendmsg(MSG_INTERRUPT)
	s_mov_b32 m0, ttmp2
.LBB2_702:                              ; =>This Inner Loop Header: Depth=1
	s_sethalt 5
	s_branch .LBB2_702
.LBB2_703:
	s_or_b32 exec_lo, exec_lo, s2
.LBB2_704:
	s_delay_alu instid0(SALU_CYCLE_1) | instskip(SKIP_2) | instid1(VALU_DEP_1)
	s_or_b32 exec_lo, exec_lo, s1
	v_and_b32_e32 v0, 0x2000, v48
	s_mov_b32 s1, exec_lo
	v_cmpx_ne_u32_e32 0, v0
	s_cbranch_execz .LBB2_707
; %bb.705:
	s_cbranch_execnz .LBB2_715
; %bb.706:
	ds_load_b64 v[4:5], v0
	s_waitcnt lgkmcnt(0)
	flat_store_b64 v[2:3], v[4:5] offset:16
.LBB2_707:
	s_or_b32 exec_lo, exec_lo, s1
	v_cmp_ne_u32_e32 vcc_lo, 32, v1
	s_and_b32 exec_lo, exec_lo, vcc_lo
	s_cbranch_execz .LBB2_874
; %bb.708:
	s_mov_b32 s1, exec_lo
	v_cmpx_ne_u32_e64 v49, v1
	s_xor_b32 s1, exec_lo, s1
	s_cbranch_execz .LBB2_872
; %bb.709:
	v_and_b32_e32 v0, 31, v31
	s_mov_b32 s2, exec_lo
	s_delay_alu instid0(VALU_DEP_1)
	v_cmpx_eq_u32_e32 0, v0
	s_cbranch_execz .LBB2_871
; %bb.710:
	s_mov_b32 s4, exec_lo
	s_mov_b32 s3, exec_lo
	v_mbcnt_lo_u32_b32 v0, s4, 0
	s_waitcnt lgkmcnt(0)
	s_waitcnt_vscnt null, 0x0
	buffer_gl1_inv
	buffer_gl0_inv
	v_cmpx_eq_u32_e32 0, v0
	s_cbranch_execz .LBB2_712
; %bb.711:
	s_bcnt1_i32_b32 s4, s4
	s_delay_alu instid0(SALU_CYCLE_1)
	v_dual_mov_b32 v3, 0 :: v_dual_mov_b32 v2, s4
	ds_add_u64 v0, v[2:3]
	s_cbranch_execnz .LBB2_760
.LBB2_712:
	s_or_b32 exec_lo, exec_lo, s3
	s_cbranch_execnz .LBB2_745
; %bb.713:
	v_ashrrev_i32_e32 v0, 31, v1
	s_mov_b32 s3, exec_lo
	s_delay_alu instid0(VALU_DEP_1) | instskip(NEXT) | instid1(VALU_DEP_1)
	v_lshrrev_b32_e32 v0, 27, v0
	v_add_nc_u32_e32 v0, v1, v0
	ds_load_b64 v[2:3], v0
	v_ashrrev_i32_e32 v0, 5, v0
	s_delay_alu instid0(VALU_DEP_1) | instskip(SKIP_1) | instid1(VALU_DEP_2)
	v_ashrrev_i32_e32 v1, 31, v0
	v_add_co_u32 v0, vcc_lo, v10, v0
	v_add_co_ci_u32_e32 v1, vcc_lo, v11, v1, vcc_lo
	s_waitcnt lgkmcnt(0)
	s_delay_alu instid0(VALU_DEP_1)
	v_cmpx_lt_u64_e64 v[2:3], v[0:1]
	s_cbranch_execz .LBB2_870
; %bb.714:
	s_mov_b32 s4, 0
	s_mov_b32 s7, 0
                                        ; implicit-def: $sgpr5
                                        ; implicit-def: $sgpr6
	s_branch .LBB2_750
.LBB2_715:
	s_trap 2
	s_sendmsg_rtn_b32 s0, sendmsg(MSG_RTN_GET_DOORBELL)
	s_mov_b32 ttmp2, m0
	s_waitcnt lgkmcnt(0)
	s_and_b32 s0, s0, 0x3ff
	s_delay_alu instid0(SALU_CYCLE_1) | instskip(NEXT) | instid1(SALU_CYCLE_1)
	s_bitset1_b32 s0, 10
	s_mov_b32 m0, s0
	s_sendmsg sendmsg(MSG_INTERRUPT)
	s_mov_b32 m0, ttmp2
.LBB2_716:                              ; =>This Inner Loop Header: Depth=1
	s_sethalt 5
	s_branch .LBB2_716
.LBB2_717:
	s_trap 2
	s_sendmsg_rtn_b32 s0, sendmsg(MSG_RTN_GET_DOORBELL)
	s_mov_b32 ttmp2, m0
	s_waitcnt lgkmcnt(0)
	s_and_b32 s0, s0, 0x3ff
	s_delay_alu instid0(SALU_CYCLE_1) | instskip(NEXT) | instid1(SALU_CYCLE_1)
	s_bitset1_b32 s0, 10
	s_mov_b32 m0, s0
	s_sendmsg sendmsg(MSG_INTERRUPT)
	s_mov_b32 m0, ttmp2
.LBB2_718:                              ; =>This Inner Loop Header: Depth=1
	s_sethalt 5
	s_branch .LBB2_718
.LBB2_719:
	s_trap 2
	s_sendmsg_rtn_b32 s0, sendmsg(MSG_RTN_GET_DOORBELL)
	s_mov_b32 ttmp2, m0
	s_waitcnt lgkmcnt(0)
	s_and_b32 s0, s0, 0x3ff
	s_delay_alu instid0(SALU_CYCLE_1) | instskip(NEXT) | instid1(SALU_CYCLE_1)
	s_bitset1_b32 s0, 10
	s_mov_b32 m0, s0
	s_sendmsg sendmsg(MSG_INTERRUPT)
	s_mov_b32 m0, ttmp2
.LBB2_720:                              ; =>This Inner Loop Header: Depth=1
	s_sethalt 5
	s_branch .LBB2_720
.LBB2_721:
	s_trap 2
	s_sendmsg_rtn_b32 s0, sendmsg(MSG_RTN_GET_DOORBELL)
	s_mov_b32 ttmp2, m0
	s_waitcnt lgkmcnt(0)
	s_and_b32 s0, s0, 0x3ff
	s_delay_alu instid0(SALU_CYCLE_1) | instskip(NEXT) | instid1(SALU_CYCLE_1)
	s_bitset1_b32 s0, 10
	s_mov_b32 m0, s0
	s_sendmsg sendmsg(MSG_INTERRUPT)
	s_mov_b32 m0, ttmp2
.LBB2_722:                              ; =>This Inner Loop Header: Depth=1
	s_sethalt 5
	s_branch .LBB2_722
.LBB2_723:
	s_trap 2
	s_sendmsg_rtn_b32 s0, sendmsg(MSG_RTN_GET_DOORBELL)
	s_mov_b32 ttmp2, m0
	s_waitcnt lgkmcnt(0)
	s_and_b32 s0, s0, 0x3ff
	s_delay_alu instid0(SALU_CYCLE_1) | instskip(NEXT) | instid1(SALU_CYCLE_1)
	s_bitset1_b32 s0, 10
	s_mov_b32 m0, s0
	s_sendmsg sendmsg(MSG_INTERRUPT)
	s_mov_b32 m0, ttmp2
.LBB2_724:                              ; =>This Inner Loop Header: Depth=1
	s_sethalt 5
	s_branch .LBB2_724
.LBB2_725:
	s_trap 2
	s_sendmsg_rtn_b32 s0, sendmsg(MSG_RTN_GET_DOORBELL)
	s_mov_b32 ttmp2, m0
	s_waitcnt lgkmcnt(0)
	s_and_b32 s0, s0, 0x3ff
	s_delay_alu instid0(SALU_CYCLE_1) | instskip(NEXT) | instid1(SALU_CYCLE_1)
	s_bitset1_b32 s0, 10
	s_mov_b32 m0, s0
	s_sendmsg sendmsg(MSG_INTERRUPT)
	s_mov_b32 m0, ttmp2
.LBB2_726:                              ; =>This Inner Loop Header: Depth=1
	s_sethalt 5
	s_branch .LBB2_726
.LBB2_727:
	s_trap 2
	s_sendmsg_rtn_b32 s0, sendmsg(MSG_RTN_GET_DOORBELL)
	s_mov_b32 ttmp2, m0
	s_waitcnt lgkmcnt(0)
	s_and_b32 s0, s0, 0x3ff
	s_delay_alu instid0(SALU_CYCLE_1) | instskip(NEXT) | instid1(SALU_CYCLE_1)
	s_bitset1_b32 s0, 10
	s_mov_b32 m0, s0
	s_sendmsg sendmsg(MSG_INTERRUPT)
	s_mov_b32 m0, ttmp2
.LBB2_728:                              ; =>This Inner Loop Header: Depth=1
	s_sethalt 5
	s_branch .LBB2_728
.LBB2_729:
	s_trap 2
	s_sendmsg_rtn_b32 s0, sendmsg(MSG_RTN_GET_DOORBELL)
	s_mov_b32 ttmp2, m0
	s_waitcnt lgkmcnt(0)
	s_and_b32 s0, s0, 0x3ff
	s_delay_alu instid0(SALU_CYCLE_1) | instskip(NEXT) | instid1(SALU_CYCLE_1)
	s_bitset1_b32 s0, 10
	s_mov_b32 m0, s0
	s_sendmsg sendmsg(MSG_INTERRUPT)
	s_mov_b32 m0, ttmp2
.LBB2_730:                              ; =>This Inner Loop Header: Depth=1
	s_sethalt 5
	s_branch .LBB2_730
.LBB2_731:
	s_trap 2
	s_sendmsg_rtn_b32 s0, sendmsg(MSG_RTN_GET_DOORBELL)
	s_mov_b32 ttmp2, m0
	s_waitcnt lgkmcnt(0)
	s_and_b32 s0, s0, 0x3ff
	s_delay_alu instid0(SALU_CYCLE_1) | instskip(NEXT) | instid1(SALU_CYCLE_1)
	s_bitset1_b32 s0, 10
	s_mov_b32 m0, s0
	s_sendmsg sendmsg(MSG_INTERRUPT)
	s_mov_b32 m0, ttmp2
.LBB2_732:                              ; =>This Inner Loop Header: Depth=1
	s_sethalt 5
	s_branch .LBB2_732
.LBB2_733:
	s_trap 2
	s_sendmsg_rtn_b32 s0, sendmsg(MSG_RTN_GET_DOORBELL)
	s_mov_b32 ttmp2, m0
	s_waitcnt lgkmcnt(0)
	s_and_b32 s0, s0, 0x3ff
	s_delay_alu instid0(SALU_CYCLE_1) | instskip(NEXT) | instid1(SALU_CYCLE_1)
	s_bitset1_b32 s0, 10
	s_mov_b32 m0, s0
	s_sendmsg sendmsg(MSG_INTERRUPT)
	s_mov_b32 m0, ttmp2
.LBB2_734:                              ; =>This Inner Loop Header: Depth=1
	s_sethalt 5
	s_branch .LBB2_734
.LBB2_735:
	s_trap 2
	s_sendmsg_rtn_b32 s0, sendmsg(MSG_RTN_GET_DOORBELL)
	s_mov_b32 ttmp2, m0
	s_waitcnt lgkmcnt(0)
	s_and_b32 s0, s0, 0x3ff
	s_delay_alu instid0(SALU_CYCLE_1) | instskip(NEXT) | instid1(SALU_CYCLE_1)
	s_bitset1_b32 s0, 10
	s_mov_b32 m0, s0
	s_sendmsg sendmsg(MSG_INTERRUPT)
	s_mov_b32 m0, ttmp2
.LBB2_736:                              ; =>This Inner Loop Header: Depth=1
	s_sethalt 5
	s_branch .LBB2_736
.LBB2_737:
	s_trap 2
	s_sendmsg_rtn_b32 s0, sendmsg(MSG_RTN_GET_DOORBELL)
	s_mov_b32 ttmp2, m0
	s_waitcnt lgkmcnt(0)
	s_and_b32 s0, s0, 0x3ff
	s_delay_alu instid0(SALU_CYCLE_1) | instskip(NEXT) | instid1(SALU_CYCLE_1)
	s_bitset1_b32 s0, 10
	s_mov_b32 m0, s0
	s_sendmsg sendmsg(MSG_INTERRUPT)
	s_mov_b32 m0, ttmp2
.LBB2_738:                              ; =>This Inner Loop Header: Depth=1
	s_sethalt 5
	s_branch .LBB2_738
.LBB2_739:
	s_trap 2
	s_sendmsg_rtn_b32 s0, sendmsg(MSG_RTN_GET_DOORBELL)
	s_mov_b32 ttmp2, m0
	s_waitcnt lgkmcnt(0)
	s_and_b32 s0, s0, 0x3ff
	s_delay_alu instid0(SALU_CYCLE_1) | instskip(NEXT) | instid1(SALU_CYCLE_1)
	s_bitset1_b32 s0, 10
	s_mov_b32 m0, s0
	s_sendmsg sendmsg(MSG_INTERRUPT)
	s_mov_b32 m0, ttmp2
.LBB2_740:                              ; =>This Inner Loop Header: Depth=1
	s_sethalt 5
	s_branch .LBB2_740
.LBB2_741:
	s_trap 2
	s_sendmsg_rtn_b32 s0, sendmsg(MSG_RTN_GET_DOORBELL)
	s_mov_b32 ttmp2, m0
	s_waitcnt lgkmcnt(0)
	s_and_b32 s0, s0, 0x3ff
	s_delay_alu instid0(SALU_CYCLE_1) | instskip(NEXT) | instid1(SALU_CYCLE_1)
	s_bitset1_b32 s0, 10
	s_mov_b32 m0, s0
	s_sendmsg sendmsg(MSG_INTERRUPT)
	s_mov_b32 m0, ttmp2
.LBB2_742:                              ; =>This Inner Loop Header: Depth=1
	s_sethalt 5
	s_branch .LBB2_742
.LBB2_743:
	s_trap 2
	s_sendmsg_rtn_b32 s0, sendmsg(MSG_RTN_GET_DOORBELL)
	s_mov_b32 ttmp2, m0
	s_waitcnt lgkmcnt(0)
	s_and_b32 s0, s0, 0x3ff
	s_delay_alu instid0(SALU_CYCLE_1) | instskip(NEXT) | instid1(SALU_CYCLE_1)
	s_bitset1_b32 s0, 10
	s_mov_b32 m0, s0
	s_sendmsg sendmsg(MSG_INTERRUPT)
	s_mov_b32 m0, ttmp2
.LBB2_744:                              ; =>This Inner Loop Header: Depth=1
	s_sethalt 5
	s_branch .LBB2_744
.LBB2_745:
	s_trap 2
	s_sendmsg_rtn_b32 s0, sendmsg(MSG_RTN_GET_DOORBELL)
	s_mov_b32 ttmp2, m0
	s_waitcnt lgkmcnt(0)
	s_and_b32 s0, s0, 0x3ff
	s_delay_alu instid0(SALU_CYCLE_1) | instskip(NEXT) | instid1(SALU_CYCLE_1)
	s_bitset1_b32 s0, 10
	s_mov_b32 m0, s0
	s_sendmsg sendmsg(MSG_INTERRUPT)
	s_mov_b32 m0, ttmp2
.LBB2_746:                              ; =>This Inner Loop Header: Depth=1
	s_sethalt 5
	s_branch .LBB2_746
.LBB2_747:
	s_trap 2
	s_sendmsg_rtn_b32 s0, sendmsg(MSG_RTN_GET_DOORBELL)
	s_mov_b32 ttmp2, m0
	s_waitcnt lgkmcnt(0)
	s_and_b32 s0, s0, 0x3ff
	s_delay_alu instid0(SALU_CYCLE_1) | instskip(NEXT) | instid1(SALU_CYCLE_1)
	s_bitset1_b32 s0, 10
	s_mov_b32 m0, s0
	s_sendmsg sendmsg(MSG_INTERRUPT)
	s_mov_b32 m0, ttmp2
.LBB2_748:                              ; =>This Inner Loop Header: Depth=1
	s_sethalt 5
	s_branch .LBB2_748
.LBB2_749:                              ;   in Loop: Header=BB2_750 Depth=1
	s_or_b32 exec_lo, exec_lo, s12
	s_delay_alu instid0(SALU_CYCLE_1) | instskip(NEXT) | instid1(SALU_CYCLE_1)
	s_and_b32 s10, exec_lo, s11
	s_or_b32 s4, s10, s4
	s_and_not1_b32 s5, s5, exec_lo
	s_and_b32 s10, s6, exec_lo
	s_delay_alu instid0(SALU_CYCLE_1)
	s_or_b32 s5, s5, s10
	s_and_not1_b32 exec_lo, exec_lo, s4
	s_cbranch_execz .LBB2_868
.LBB2_750:                              ; =>This Inner Loop Header: Depth=1
	s_add_i32 s7, s7, 1
                                        ; implicit-def: $sgpr11
	s_delay_alu instid0(SALU_CYCLE_1) | instskip(SKIP_1) | instid1(SALU_CYCLE_1)
	s_cmpk_lg_i32 s7, 0x2710
	s_cselect_b32 s10, -1, 0
	s_and_b32 vcc_lo, exec_lo, s10
	s_cbranch_vccz .LBB2_754
.LBB2_751:                              ;   in Loop: Header=BB2_750 Depth=1
	s_and_not1_b32 s6, s6, exec_lo
	s_and_b32 s12, s11, exec_lo
	s_mov_b32 s11, -1
	s_or_b32 s6, s6, s12
	s_and_saveexec_b32 s12, s10
	s_cbranch_execz .LBB2_749
; %bb.752:                              ;   in Loop: Header=BB2_750 Depth=1
	s_sleep 1
	s_cbranch_execnz .LBB2_776
; %bb.753:                              ;   in Loop: Header=BB2_750 Depth=1
	ds_load_b64 v[2:3], v0
	s_and_not1_b32 s6, s6, exec_lo
	s_waitcnt lgkmcnt(0)
	v_cmp_ge_u64_e32 vcc_lo, v[2:3], v[0:1]
	s_or_not1_b32 s11, vcc_lo, exec_lo
	s_branch .LBB2_749
.LBB2_754:                              ;   in Loop: Header=BB2_750 Depth=1
	s_cbranch_execnz .LBB2_784
; %bb.755:                              ;   in Loop: Header=BB2_750 Depth=1
	ds_load_b64 v[2:3], v0
	s_and_not1_b32 s10, s10, exec_lo
	s_mov_b32 s7, 0
	s_mov_b32 s11, -1
	s_waitcnt lgkmcnt(0)
	flat_load_b32 v2, v[2:3] glc
	s_waitcnt vmcnt(0) lgkmcnt(0)
	buffer_gl1_inv
	buffer_gl0_inv
	v_cmp_eq_u32_e32 vcc_lo, 0, v2
	s_and_b32 s12, vcc_lo, exec_lo
	s_delay_alu instid0(SALU_CYCLE_1)
	s_or_b32 s10, s10, s12
	s_branch .LBB2_751
.LBB2_756:
	s_trap 2
	s_sendmsg_rtn_b32 s0, sendmsg(MSG_RTN_GET_DOORBELL)
	s_mov_b32 ttmp2, m0
	s_waitcnt lgkmcnt(0)
	s_and_b32 s0, s0, 0x3ff
	s_delay_alu instid0(SALU_CYCLE_1) | instskip(NEXT) | instid1(SALU_CYCLE_1)
	s_bitset1_b32 s0, 10
	s_mov_b32 m0, s0
	s_sendmsg sendmsg(MSG_INTERRUPT)
	s_mov_b32 m0, ttmp2
.LBB2_757:                              ; =>This Inner Loop Header: Depth=1
	s_sethalt 5
	s_branch .LBB2_757
.LBB2_758:
	s_trap 2
	s_sendmsg_rtn_b32 s0, sendmsg(MSG_RTN_GET_DOORBELL)
	s_mov_b32 ttmp2, m0
	s_waitcnt lgkmcnt(0)
	s_and_b32 s0, s0, 0x3ff
	s_delay_alu instid0(SALU_CYCLE_1) | instskip(NEXT) | instid1(SALU_CYCLE_1)
	s_bitset1_b32 s0, 10
	s_mov_b32 m0, s0
	s_sendmsg sendmsg(MSG_INTERRUPT)
	s_mov_b32 m0, ttmp2
.LBB2_759:                              ; =>This Inner Loop Header: Depth=1
	s_sethalt 5
	s_branch .LBB2_759
.LBB2_760:
	s_trap 2
	s_sendmsg_rtn_b32 s0, sendmsg(MSG_RTN_GET_DOORBELL)
	s_mov_b32 ttmp2, m0
	s_waitcnt lgkmcnt(0)
	s_and_b32 s0, s0, 0x3ff
	s_delay_alu instid0(SALU_CYCLE_1) | instskip(NEXT) | instid1(SALU_CYCLE_1)
	s_bitset1_b32 s0, 10
	s_mov_b32 m0, s0
	s_sendmsg sendmsg(MSG_INTERRUPT)
	s_mov_b32 m0, ttmp2
.LBB2_761:                              ; =>This Inner Loop Header: Depth=1
	s_sethalt 5
	s_branch .LBB2_761
.LBB2_762:
	s_trap 2
	s_sendmsg_rtn_b32 s0, sendmsg(MSG_RTN_GET_DOORBELL)
	s_mov_b32 ttmp2, m0
	s_waitcnt lgkmcnt(0)
	s_and_b32 s0, s0, 0x3ff
	s_delay_alu instid0(SALU_CYCLE_1) | instskip(NEXT) | instid1(SALU_CYCLE_1)
	s_bitset1_b32 s0, 10
	s_mov_b32 m0, s0
	s_sendmsg sendmsg(MSG_INTERRUPT)
	s_mov_b32 m0, ttmp2
.LBB2_763:                              ; =>This Inner Loop Header: Depth=1
	s_sethalt 5
	s_branch .LBB2_763
.LBB2_764:
	s_trap 2
	s_sendmsg_rtn_b32 s0, sendmsg(MSG_RTN_GET_DOORBELL)
	s_mov_b32 ttmp2, m0
	s_waitcnt lgkmcnt(0)
	s_and_b32 s0, s0, 0x3ff
	s_delay_alu instid0(SALU_CYCLE_1) | instskip(NEXT) | instid1(SALU_CYCLE_1)
	s_bitset1_b32 s0, 10
	s_mov_b32 m0, s0
	s_sendmsg sendmsg(MSG_INTERRUPT)
	s_mov_b32 m0, ttmp2
.LBB2_765:                              ; =>This Inner Loop Header: Depth=1
	s_sethalt 5
	s_branch .LBB2_765
.LBB2_766:
	s_trap 2
	s_sendmsg_rtn_b32 s0, sendmsg(MSG_RTN_GET_DOORBELL)
	s_mov_b32 ttmp2, m0
	s_waitcnt lgkmcnt(0)
	s_and_b32 s0, s0, 0x3ff
	s_delay_alu instid0(SALU_CYCLE_1) | instskip(NEXT) | instid1(SALU_CYCLE_1)
	s_bitset1_b32 s0, 10
	s_mov_b32 m0, s0
	s_sendmsg sendmsg(MSG_INTERRUPT)
	s_mov_b32 m0, ttmp2
.LBB2_767:                              ; =>This Inner Loop Header: Depth=1
	s_sethalt 5
	s_branch .LBB2_767
.LBB2_768:
	s_trap 2
	s_sendmsg_rtn_b32 s0, sendmsg(MSG_RTN_GET_DOORBELL)
	s_mov_b32 ttmp2, m0
	s_waitcnt lgkmcnt(0)
	s_and_b32 s0, s0, 0x3ff
	s_delay_alu instid0(SALU_CYCLE_1) | instskip(NEXT) | instid1(SALU_CYCLE_1)
	s_bitset1_b32 s0, 10
	s_mov_b32 m0, s0
	s_sendmsg sendmsg(MSG_INTERRUPT)
	s_mov_b32 m0, ttmp2
.LBB2_769:                              ; =>This Inner Loop Header: Depth=1
	s_sethalt 5
	s_branch .LBB2_769
.LBB2_770:
	s_trap 2
	s_sendmsg_rtn_b32 s0, sendmsg(MSG_RTN_GET_DOORBELL)
	s_mov_b32 ttmp2, m0
	s_waitcnt lgkmcnt(0)
	s_and_b32 s0, s0, 0x3ff
	s_delay_alu instid0(SALU_CYCLE_1) | instskip(NEXT) | instid1(SALU_CYCLE_1)
	s_bitset1_b32 s0, 10
	s_mov_b32 m0, s0
	s_sendmsg sendmsg(MSG_INTERRUPT)
	s_mov_b32 m0, ttmp2
.LBB2_771:                              ; =>This Inner Loop Header: Depth=1
	s_sethalt 5
	s_branch .LBB2_771
.LBB2_772:
	s_trap 2
	s_sendmsg_rtn_b32 s0, sendmsg(MSG_RTN_GET_DOORBELL)
	s_mov_b32 ttmp2, m0
	s_waitcnt lgkmcnt(0)
	s_and_b32 s0, s0, 0x3ff
	s_delay_alu instid0(SALU_CYCLE_1) | instskip(NEXT) | instid1(SALU_CYCLE_1)
	s_bitset1_b32 s0, 10
	s_mov_b32 m0, s0
	s_sendmsg sendmsg(MSG_INTERRUPT)
	s_mov_b32 m0, ttmp2
.LBB2_773:                              ; =>This Inner Loop Header: Depth=1
	s_sethalt 5
	s_branch .LBB2_773
.LBB2_774:
	s_trap 2
	s_sendmsg_rtn_b32 s0, sendmsg(MSG_RTN_GET_DOORBELL)
	s_mov_b32 ttmp2, m0
	s_waitcnt lgkmcnt(0)
	s_and_b32 s0, s0, 0x3ff
	s_delay_alu instid0(SALU_CYCLE_1) | instskip(NEXT) | instid1(SALU_CYCLE_1)
	s_bitset1_b32 s0, 10
	s_mov_b32 m0, s0
	s_sendmsg sendmsg(MSG_INTERRUPT)
	s_mov_b32 m0, ttmp2
.LBB2_775:                              ; =>This Inner Loop Header: Depth=1
	s_sethalt 5
	s_branch .LBB2_775
.LBB2_776:
	s_trap 2
	s_sendmsg_rtn_b32 s0, sendmsg(MSG_RTN_GET_DOORBELL)
	s_mov_b32 ttmp2, m0
	s_waitcnt lgkmcnt(0)
	s_and_b32 s0, s0, 0x3ff
	s_delay_alu instid0(SALU_CYCLE_1) | instskip(NEXT) | instid1(SALU_CYCLE_1)
	s_bitset1_b32 s0, 10
	s_mov_b32 m0, s0
	s_sendmsg sendmsg(MSG_INTERRUPT)
	s_mov_b32 m0, ttmp2
.LBB2_777:                              ; =>This Inner Loop Header: Depth=1
	s_sethalt 5
	s_branch .LBB2_777
.LBB2_778:
	s_trap 2
	s_sendmsg_rtn_b32 s0, sendmsg(MSG_RTN_GET_DOORBELL)
	s_mov_b32 ttmp2, m0
	s_waitcnt lgkmcnt(0)
	s_and_b32 s0, s0, 0x3ff
	s_delay_alu instid0(SALU_CYCLE_1) | instskip(NEXT) | instid1(SALU_CYCLE_1)
	s_bitset1_b32 s0, 10
	s_mov_b32 m0, s0
	s_sendmsg sendmsg(MSG_INTERRUPT)
	s_mov_b32 m0, ttmp2
.LBB2_779:                              ; =>This Inner Loop Header: Depth=1
	s_sethalt 5
	s_branch .LBB2_779
.LBB2_780:
	s_trap 2
	s_sendmsg_rtn_b32 s0, sendmsg(MSG_RTN_GET_DOORBELL)
	s_mov_b32 ttmp2, m0
	s_waitcnt lgkmcnt(0)
	s_and_b32 s0, s0, 0x3ff
	s_delay_alu instid0(SALU_CYCLE_1) | instskip(NEXT) | instid1(SALU_CYCLE_1)
	s_bitset1_b32 s0, 10
	s_mov_b32 m0, s0
	s_sendmsg sendmsg(MSG_INTERRUPT)
	s_mov_b32 m0, ttmp2
.LBB2_781:                              ; =>This Inner Loop Header: Depth=1
	s_sethalt 5
	s_branch .LBB2_781
.LBB2_782:
	s_trap 2
	s_sendmsg_rtn_b32 s0, sendmsg(MSG_RTN_GET_DOORBELL)
	s_mov_b32 ttmp2, m0
	s_waitcnt lgkmcnt(0)
	s_and_b32 s0, s0, 0x3ff
	s_delay_alu instid0(SALU_CYCLE_1) | instskip(NEXT) | instid1(SALU_CYCLE_1)
	s_bitset1_b32 s0, 10
	s_mov_b32 m0, s0
	s_sendmsg sendmsg(MSG_INTERRUPT)
	s_mov_b32 m0, ttmp2
.LBB2_783:                              ; =>This Inner Loop Header: Depth=1
	s_sethalt 5
	s_branch .LBB2_783
.LBB2_784:
	s_trap 2
	s_sendmsg_rtn_b32 s0, sendmsg(MSG_RTN_GET_DOORBELL)
	s_mov_b32 ttmp2, m0
	s_waitcnt lgkmcnt(0)
	s_and_b32 s0, s0, 0x3ff
	s_delay_alu instid0(SALU_CYCLE_1) | instskip(NEXT) | instid1(SALU_CYCLE_1)
	s_bitset1_b32 s0, 10
	s_mov_b32 m0, s0
	s_sendmsg sendmsg(MSG_INTERRUPT)
	s_mov_b32 m0, ttmp2
.LBB2_785:                              ; =>This Inner Loop Header: Depth=1
	s_sethalt 5
	s_branch .LBB2_785
.LBB2_786:
	s_trap 2
	s_sendmsg_rtn_b32 s0, sendmsg(MSG_RTN_GET_DOORBELL)
	s_mov_b32 ttmp2, m0
	s_waitcnt lgkmcnt(0)
	s_and_b32 s0, s0, 0x3ff
	s_delay_alu instid0(SALU_CYCLE_1) | instskip(NEXT) | instid1(SALU_CYCLE_1)
	s_bitset1_b32 s0, 10
	s_mov_b32 m0, s0
	s_sendmsg sendmsg(MSG_INTERRUPT)
	s_mov_b32 m0, ttmp2
.LBB2_787:                              ; =>This Inner Loop Header: Depth=1
	s_sethalt 5
	s_branch .LBB2_787
.LBB2_788:
	s_trap 2
	s_sendmsg_rtn_b32 s0, sendmsg(MSG_RTN_GET_DOORBELL)
	s_mov_b32 ttmp2, m0
	s_waitcnt lgkmcnt(0)
	s_and_b32 s0, s0, 0x3ff
	s_delay_alu instid0(SALU_CYCLE_1) | instskip(NEXT) | instid1(SALU_CYCLE_1)
	s_bitset1_b32 s0, 10
	s_mov_b32 m0, s0
	s_sendmsg sendmsg(MSG_INTERRUPT)
	s_mov_b32 m0, ttmp2
.LBB2_789:                              ; =>This Inner Loop Header: Depth=1
	s_sethalt 5
	s_branch .LBB2_789
.LBB2_790:
	s_trap 2
	s_sendmsg_rtn_b32 s0, sendmsg(MSG_RTN_GET_DOORBELL)
	s_mov_b32 ttmp2, m0
	s_waitcnt lgkmcnt(0)
	s_and_b32 s0, s0, 0x3ff
	s_delay_alu instid0(SALU_CYCLE_1) | instskip(NEXT) | instid1(SALU_CYCLE_1)
	s_bitset1_b32 s0, 10
	s_mov_b32 m0, s0
	s_sendmsg sendmsg(MSG_INTERRUPT)
	s_mov_b32 m0, ttmp2
.LBB2_791:                              ; =>This Inner Loop Header: Depth=1
	s_sethalt 5
	s_branch .LBB2_791
.LBB2_792:
	s_trap 2
	s_sendmsg_rtn_b32 s0, sendmsg(MSG_RTN_GET_DOORBELL)
	s_mov_b32 ttmp2, m0
	s_waitcnt lgkmcnt(0)
	s_and_b32 s0, s0, 0x3ff
	s_delay_alu instid0(SALU_CYCLE_1) | instskip(NEXT) | instid1(SALU_CYCLE_1)
	s_bitset1_b32 s0, 10
	s_mov_b32 m0, s0
	s_sendmsg sendmsg(MSG_INTERRUPT)
	s_mov_b32 m0, ttmp2
.LBB2_793:                              ; =>This Inner Loop Header: Depth=1
	s_sethalt 5
	s_branch .LBB2_793
.LBB2_794:
	s_trap 2
	s_sendmsg_rtn_b32 s0, sendmsg(MSG_RTN_GET_DOORBELL)
	s_mov_b32 ttmp2, m0
	s_waitcnt lgkmcnt(0)
	s_and_b32 s0, s0, 0x3ff
	s_delay_alu instid0(SALU_CYCLE_1) | instskip(NEXT) | instid1(SALU_CYCLE_1)
	s_bitset1_b32 s0, 10
	s_mov_b32 m0, s0
	s_sendmsg sendmsg(MSG_INTERRUPT)
	s_mov_b32 m0, ttmp2
.LBB2_795:                              ; =>This Inner Loop Header: Depth=1
	s_sethalt 5
	s_branch .LBB2_795
.LBB2_796:
	s_trap 2
	s_sendmsg_rtn_b32 s0, sendmsg(MSG_RTN_GET_DOORBELL)
	s_mov_b32 ttmp2, m0
	s_waitcnt lgkmcnt(0)
	s_and_b32 s0, s0, 0x3ff
	s_delay_alu instid0(SALU_CYCLE_1) | instskip(NEXT) | instid1(SALU_CYCLE_1)
	s_bitset1_b32 s0, 10
	s_mov_b32 m0, s0
	s_sendmsg sendmsg(MSG_INTERRUPT)
	s_mov_b32 m0, ttmp2
.LBB2_797:                              ; =>This Inner Loop Header: Depth=1
	s_sethalt 5
	s_branch .LBB2_797
.LBB2_798:
	s_trap 2
	s_sendmsg_rtn_b32 s0, sendmsg(MSG_RTN_GET_DOORBELL)
	s_mov_b32 ttmp2, m0
	s_waitcnt lgkmcnt(0)
	s_and_b32 s0, s0, 0x3ff
	s_delay_alu instid0(SALU_CYCLE_1) | instskip(NEXT) | instid1(SALU_CYCLE_1)
	s_bitset1_b32 s0, 10
	s_mov_b32 m0, s0
	s_sendmsg sendmsg(MSG_INTERRUPT)
	s_mov_b32 m0, ttmp2
.LBB2_799:                              ; =>This Inner Loop Header: Depth=1
	s_sethalt 5
	s_branch .LBB2_799
.LBB2_800:
	s_trap 2
	s_sendmsg_rtn_b32 s0, sendmsg(MSG_RTN_GET_DOORBELL)
	s_mov_b32 ttmp2, m0
	s_waitcnt lgkmcnt(0)
	s_and_b32 s0, s0, 0x3ff
	s_delay_alu instid0(SALU_CYCLE_1) | instskip(NEXT) | instid1(SALU_CYCLE_1)
	s_bitset1_b32 s0, 10
	s_mov_b32 m0, s0
	s_sendmsg sendmsg(MSG_INTERRUPT)
	s_mov_b32 m0, ttmp2
.LBB2_801:                              ; =>This Inner Loop Header: Depth=1
	s_sethalt 5
	s_branch .LBB2_801
.LBB2_802:
	s_trap 2
	s_sendmsg_rtn_b32 s0, sendmsg(MSG_RTN_GET_DOORBELL)
	s_mov_b32 ttmp2, m0
	s_waitcnt lgkmcnt(0)
	s_and_b32 s0, s0, 0x3ff
	s_delay_alu instid0(SALU_CYCLE_1) | instskip(NEXT) | instid1(SALU_CYCLE_1)
	s_bitset1_b32 s0, 10
	s_mov_b32 m0, s0
	s_sendmsg sendmsg(MSG_INTERRUPT)
	s_mov_b32 m0, ttmp2
.LBB2_803:                              ; =>This Inner Loop Header: Depth=1
	s_sethalt 5
	s_branch .LBB2_803
.LBB2_804:
	s_trap 2
	s_sendmsg_rtn_b32 s0, sendmsg(MSG_RTN_GET_DOORBELL)
	s_mov_b32 ttmp2, m0
	s_waitcnt lgkmcnt(0)
	s_and_b32 s0, s0, 0x3ff
	s_delay_alu instid0(SALU_CYCLE_1) | instskip(NEXT) | instid1(SALU_CYCLE_1)
	s_bitset1_b32 s0, 10
	s_mov_b32 m0, s0
	s_sendmsg sendmsg(MSG_INTERRUPT)
	s_mov_b32 m0, ttmp2
.LBB2_805:                              ; =>This Inner Loop Header: Depth=1
	s_sethalt 5
	s_branch .LBB2_805
.LBB2_806:
	s_trap 2
	s_sendmsg_rtn_b32 s0, sendmsg(MSG_RTN_GET_DOORBELL)
	s_mov_b32 ttmp2, m0
	s_waitcnt lgkmcnt(0)
	s_and_b32 s0, s0, 0x3ff
	s_delay_alu instid0(SALU_CYCLE_1) | instskip(NEXT) | instid1(SALU_CYCLE_1)
	s_bitset1_b32 s0, 10
	s_mov_b32 m0, s0
	s_sendmsg sendmsg(MSG_INTERRUPT)
	s_mov_b32 m0, ttmp2
.LBB2_807:                              ; =>This Inner Loop Header: Depth=1
	s_sethalt 5
	s_branch .LBB2_807
.LBB2_808:
	s_trap 2
	s_sendmsg_rtn_b32 s0, sendmsg(MSG_RTN_GET_DOORBELL)
	s_mov_b32 ttmp2, m0
	s_waitcnt lgkmcnt(0)
	s_and_b32 s0, s0, 0x3ff
	s_delay_alu instid0(SALU_CYCLE_1) | instskip(NEXT) | instid1(SALU_CYCLE_1)
	s_bitset1_b32 s0, 10
	s_mov_b32 m0, s0
	s_sendmsg sendmsg(MSG_INTERRUPT)
	s_mov_b32 m0, ttmp2
.LBB2_809:                              ; =>This Inner Loop Header: Depth=1
	s_sethalt 5
	s_branch .LBB2_809
.LBB2_810:
	s_trap 2
	s_sendmsg_rtn_b32 s0, sendmsg(MSG_RTN_GET_DOORBELL)
	s_mov_b32 ttmp2, m0
	s_waitcnt lgkmcnt(0)
	s_and_b32 s0, s0, 0x3ff
	s_delay_alu instid0(SALU_CYCLE_1) | instskip(NEXT) | instid1(SALU_CYCLE_1)
	s_bitset1_b32 s0, 10
	s_mov_b32 m0, s0
	s_sendmsg sendmsg(MSG_INTERRUPT)
	s_mov_b32 m0, ttmp2
.LBB2_811:                              ; =>This Inner Loop Header: Depth=1
	s_sethalt 5
	s_branch .LBB2_811
.LBB2_812:
	s_trap 2
	s_sendmsg_rtn_b32 s0, sendmsg(MSG_RTN_GET_DOORBELL)
	s_mov_b32 ttmp2, m0
	s_waitcnt lgkmcnt(0)
	s_and_b32 s0, s0, 0x3ff
	s_delay_alu instid0(SALU_CYCLE_1) | instskip(NEXT) | instid1(SALU_CYCLE_1)
	s_bitset1_b32 s0, 10
	s_mov_b32 m0, s0
	s_sendmsg sendmsg(MSG_INTERRUPT)
	s_mov_b32 m0, ttmp2
.LBB2_813:                              ; =>This Inner Loop Header: Depth=1
	s_sethalt 5
	s_branch .LBB2_813
.LBB2_814:
	s_trap 2
	s_sendmsg_rtn_b32 s0, sendmsg(MSG_RTN_GET_DOORBELL)
	s_mov_b32 ttmp2, m0
	s_waitcnt lgkmcnt(0)
	s_and_b32 s0, s0, 0x3ff
	s_delay_alu instid0(SALU_CYCLE_1) | instskip(NEXT) | instid1(SALU_CYCLE_1)
	s_bitset1_b32 s0, 10
	s_mov_b32 m0, s0
	s_sendmsg sendmsg(MSG_INTERRUPT)
	s_mov_b32 m0, ttmp2
.LBB2_815:                              ; =>This Inner Loop Header: Depth=1
	s_sethalt 5
	s_branch .LBB2_815
.LBB2_816:
	s_trap 2
	s_sendmsg_rtn_b32 s0, sendmsg(MSG_RTN_GET_DOORBELL)
	s_mov_b32 ttmp2, m0
	s_waitcnt lgkmcnt(0)
	s_and_b32 s0, s0, 0x3ff
	s_delay_alu instid0(SALU_CYCLE_1) | instskip(NEXT) | instid1(SALU_CYCLE_1)
	s_bitset1_b32 s0, 10
	s_mov_b32 m0, s0
	s_sendmsg sendmsg(MSG_INTERRUPT)
	s_mov_b32 m0, ttmp2
.LBB2_817:                              ; =>This Inner Loop Header: Depth=1
	s_sethalt 5
	s_branch .LBB2_817
.LBB2_818:
	s_trap 2
	s_sendmsg_rtn_b32 s0, sendmsg(MSG_RTN_GET_DOORBELL)
	s_mov_b32 ttmp2, m0
	s_waitcnt lgkmcnt(0)
	s_and_b32 s0, s0, 0x3ff
	s_delay_alu instid0(SALU_CYCLE_1) | instskip(NEXT) | instid1(SALU_CYCLE_1)
	s_bitset1_b32 s0, 10
	s_mov_b32 m0, s0
	s_sendmsg sendmsg(MSG_INTERRUPT)
	s_mov_b32 m0, ttmp2
.LBB2_819:                              ; =>This Inner Loop Header: Depth=1
	s_sethalt 5
	s_branch .LBB2_819
.LBB2_820:
	s_trap 2
	s_sendmsg_rtn_b32 s0, sendmsg(MSG_RTN_GET_DOORBELL)
	s_mov_b32 ttmp2, m0
	s_waitcnt lgkmcnt(0)
	s_and_b32 s0, s0, 0x3ff
	s_delay_alu instid0(SALU_CYCLE_1) | instskip(NEXT) | instid1(SALU_CYCLE_1)
	s_bitset1_b32 s0, 10
	s_mov_b32 m0, s0
	s_sendmsg sendmsg(MSG_INTERRUPT)
	s_mov_b32 m0, ttmp2
.LBB2_821:                              ; =>This Inner Loop Header: Depth=1
	s_sethalt 5
	s_branch .LBB2_821
.LBB2_822:
	s_trap 2
	s_sendmsg_rtn_b32 s0, sendmsg(MSG_RTN_GET_DOORBELL)
	s_mov_b32 ttmp2, m0
	s_waitcnt lgkmcnt(0)
	s_and_b32 s0, s0, 0x3ff
	s_delay_alu instid0(SALU_CYCLE_1) | instskip(NEXT) | instid1(SALU_CYCLE_1)
	s_bitset1_b32 s0, 10
	s_mov_b32 m0, s0
	s_sendmsg sendmsg(MSG_INTERRUPT)
	s_mov_b32 m0, ttmp2
.LBB2_823:                              ; =>This Inner Loop Header: Depth=1
	s_sethalt 5
	s_branch .LBB2_823
.LBB2_824:
	s_trap 2
	s_sendmsg_rtn_b32 s0, sendmsg(MSG_RTN_GET_DOORBELL)
	s_mov_b32 ttmp2, m0
	s_waitcnt lgkmcnt(0)
	s_and_b32 s0, s0, 0x3ff
	s_delay_alu instid0(SALU_CYCLE_1) | instskip(NEXT) | instid1(SALU_CYCLE_1)
	s_bitset1_b32 s0, 10
	s_mov_b32 m0, s0
	s_sendmsg sendmsg(MSG_INTERRUPT)
	s_mov_b32 m0, ttmp2
.LBB2_825:                              ; =>This Inner Loop Header: Depth=1
	s_sethalt 5
	s_branch .LBB2_825
.LBB2_826:
	s_trap 2
	s_sendmsg_rtn_b32 s0, sendmsg(MSG_RTN_GET_DOORBELL)
	s_mov_b32 ttmp2, m0
	s_waitcnt lgkmcnt(0)
	s_and_b32 s0, s0, 0x3ff
	s_delay_alu instid0(SALU_CYCLE_1) | instskip(NEXT) | instid1(SALU_CYCLE_1)
	s_bitset1_b32 s0, 10
	s_mov_b32 m0, s0
	s_sendmsg sendmsg(MSG_INTERRUPT)
	s_mov_b32 m0, ttmp2
.LBB2_827:                              ; =>This Inner Loop Header: Depth=1
	s_sethalt 5
	s_branch .LBB2_827
.LBB2_828:
	s_trap 2
	s_sendmsg_rtn_b32 s0, sendmsg(MSG_RTN_GET_DOORBELL)
	s_mov_b32 ttmp2, m0
	s_waitcnt lgkmcnt(0)
	s_and_b32 s0, s0, 0x3ff
	s_delay_alu instid0(SALU_CYCLE_1) | instskip(NEXT) | instid1(SALU_CYCLE_1)
	s_bitset1_b32 s0, 10
	s_mov_b32 m0, s0
	s_sendmsg sendmsg(MSG_INTERRUPT)
	s_mov_b32 m0, ttmp2
.LBB2_829:                              ; =>This Inner Loop Header: Depth=1
	s_sethalt 5
	s_branch .LBB2_829
.LBB2_830:
	s_trap 2
	s_sendmsg_rtn_b32 s0, sendmsg(MSG_RTN_GET_DOORBELL)
	s_mov_b32 ttmp2, m0
	s_waitcnt lgkmcnt(0)
	s_and_b32 s0, s0, 0x3ff
	s_delay_alu instid0(SALU_CYCLE_1) | instskip(NEXT) | instid1(SALU_CYCLE_1)
	s_bitset1_b32 s0, 10
	s_mov_b32 m0, s0
	s_sendmsg sendmsg(MSG_INTERRUPT)
	s_mov_b32 m0, ttmp2
.LBB2_831:                              ; =>This Inner Loop Header: Depth=1
	s_sethalt 5
	s_branch .LBB2_831
.LBB2_832:
	s_trap 2
	s_sendmsg_rtn_b32 s0, sendmsg(MSG_RTN_GET_DOORBELL)
	s_mov_b32 ttmp2, m0
	s_waitcnt lgkmcnt(0)
	s_and_b32 s0, s0, 0x3ff
	s_delay_alu instid0(SALU_CYCLE_1) | instskip(NEXT) | instid1(SALU_CYCLE_1)
	s_bitset1_b32 s0, 10
	s_mov_b32 m0, s0
	s_sendmsg sendmsg(MSG_INTERRUPT)
	s_mov_b32 m0, ttmp2
.LBB2_833:                              ; =>This Inner Loop Header: Depth=1
	s_sethalt 5
	s_branch .LBB2_833
.LBB2_834:
	s_trap 2
	s_sendmsg_rtn_b32 s0, sendmsg(MSG_RTN_GET_DOORBELL)
	s_mov_b32 ttmp2, m0
	s_waitcnt lgkmcnt(0)
	s_and_b32 s0, s0, 0x3ff
	s_delay_alu instid0(SALU_CYCLE_1) | instskip(NEXT) | instid1(SALU_CYCLE_1)
	s_bitset1_b32 s0, 10
	s_mov_b32 m0, s0
	s_sendmsg sendmsg(MSG_INTERRUPT)
	s_mov_b32 m0, ttmp2
.LBB2_835:                              ; =>This Inner Loop Header: Depth=1
	s_sethalt 5
	s_branch .LBB2_835
.LBB2_836:
	s_trap 2
	s_sendmsg_rtn_b32 s0, sendmsg(MSG_RTN_GET_DOORBELL)
	s_mov_b32 ttmp2, m0
	s_waitcnt lgkmcnt(0)
	s_and_b32 s0, s0, 0x3ff
	s_delay_alu instid0(SALU_CYCLE_1) | instskip(NEXT) | instid1(SALU_CYCLE_1)
	s_bitset1_b32 s0, 10
	s_mov_b32 m0, s0
	s_sendmsg sendmsg(MSG_INTERRUPT)
	s_mov_b32 m0, ttmp2
.LBB2_837:                              ; =>This Inner Loop Header: Depth=1
	s_sethalt 5
	s_branch .LBB2_837
.LBB2_838:
	s_trap 2
	s_sendmsg_rtn_b32 s0, sendmsg(MSG_RTN_GET_DOORBELL)
	s_mov_b32 ttmp2, m0
	s_waitcnt lgkmcnt(0)
	s_and_b32 s0, s0, 0x3ff
	s_delay_alu instid0(SALU_CYCLE_1) | instskip(NEXT) | instid1(SALU_CYCLE_1)
	s_bitset1_b32 s0, 10
	s_mov_b32 m0, s0
	s_sendmsg sendmsg(MSG_INTERRUPT)
	s_mov_b32 m0, ttmp2
.LBB2_839:                              ; =>This Inner Loop Header: Depth=1
	s_sethalt 5
	s_branch .LBB2_839
.LBB2_840:
	s_trap 2
	s_sendmsg_rtn_b32 s0, sendmsg(MSG_RTN_GET_DOORBELL)
	s_mov_b32 ttmp2, m0
	s_waitcnt lgkmcnt(0)
	s_and_b32 s0, s0, 0x3ff
	s_delay_alu instid0(SALU_CYCLE_1) | instskip(NEXT) | instid1(SALU_CYCLE_1)
	s_bitset1_b32 s0, 10
	s_mov_b32 m0, s0
	s_sendmsg sendmsg(MSG_INTERRUPT)
	s_mov_b32 m0, ttmp2
.LBB2_841:                              ; =>This Inner Loop Header: Depth=1
	s_sethalt 5
	s_branch .LBB2_841
.LBB2_842:
	s_trap 2
	s_sendmsg_rtn_b32 s0, sendmsg(MSG_RTN_GET_DOORBELL)
	s_mov_b32 ttmp2, m0
	s_waitcnt lgkmcnt(0)
	s_and_b32 s0, s0, 0x3ff
	s_delay_alu instid0(SALU_CYCLE_1) | instskip(NEXT) | instid1(SALU_CYCLE_1)
	s_bitset1_b32 s0, 10
	s_mov_b32 m0, s0
	s_sendmsg sendmsg(MSG_INTERRUPT)
	s_mov_b32 m0, ttmp2
.LBB2_843:                              ; =>This Inner Loop Header: Depth=1
	s_sethalt 5
	s_branch .LBB2_843
.LBB2_844:
	s_trap 2
	s_sendmsg_rtn_b32 s0, sendmsg(MSG_RTN_GET_DOORBELL)
	s_mov_b32 ttmp2, m0
	s_waitcnt lgkmcnt(0)
	s_and_b32 s0, s0, 0x3ff
	s_delay_alu instid0(SALU_CYCLE_1) | instskip(NEXT) | instid1(SALU_CYCLE_1)
	s_bitset1_b32 s0, 10
	s_mov_b32 m0, s0
	s_sendmsg sendmsg(MSG_INTERRUPT)
	s_mov_b32 m0, ttmp2
.LBB2_845:                              ; =>This Inner Loop Header: Depth=1
	s_sethalt 5
	s_branch .LBB2_845
.LBB2_846:
	s_trap 2
	s_sendmsg_rtn_b32 s0, sendmsg(MSG_RTN_GET_DOORBELL)
	s_mov_b32 ttmp2, m0
	s_waitcnt lgkmcnt(0)
	s_and_b32 s0, s0, 0x3ff
	s_delay_alu instid0(SALU_CYCLE_1) | instskip(NEXT) | instid1(SALU_CYCLE_1)
	s_bitset1_b32 s0, 10
	s_mov_b32 m0, s0
	s_sendmsg sendmsg(MSG_INTERRUPT)
	s_mov_b32 m0, ttmp2
.LBB2_847:                              ; =>This Inner Loop Header: Depth=1
	s_sethalt 5
	s_branch .LBB2_847
.LBB2_848:
	s_trap 2
	s_sendmsg_rtn_b32 s0, sendmsg(MSG_RTN_GET_DOORBELL)
	s_mov_b32 ttmp2, m0
	s_waitcnt lgkmcnt(0)
	s_and_b32 s0, s0, 0x3ff
	s_delay_alu instid0(SALU_CYCLE_1) | instskip(NEXT) | instid1(SALU_CYCLE_1)
	s_bitset1_b32 s0, 10
	s_mov_b32 m0, s0
	s_sendmsg sendmsg(MSG_INTERRUPT)
	s_mov_b32 m0, ttmp2
.LBB2_849:                              ; =>This Inner Loop Header: Depth=1
	s_sethalt 5
	s_branch .LBB2_849
.LBB2_850:
	s_trap 2
	s_sendmsg_rtn_b32 s0, sendmsg(MSG_RTN_GET_DOORBELL)
	s_mov_b32 ttmp2, m0
	s_waitcnt lgkmcnt(0)
	s_and_b32 s0, s0, 0x3ff
	s_delay_alu instid0(SALU_CYCLE_1) | instskip(NEXT) | instid1(SALU_CYCLE_1)
	s_bitset1_b32 s0, 10
	s_mov_b32 m0, s0
	s_sendmsg sendmsg(MSG_INTERRUPT)
	s_mov_b32 m0, ttmp2
.LBB2_851:                              ; =>This Inner Loop Header: Depth=1
	s_sethalt 5
	s_branch .LBB2_851
.LBB2_852:
	s_trap 2
	s_sendmsg_rtn_b32 s0, sendmsg(MSG_RTN_GET_DOORBELL)
	s_mov_b32 ttmp2, m0
	s_waitcnt lgkmcnt(0)
	s_and_b32 s0, s0, 0x3ff
	s_delay_alu instid0(SALU_CYCLE_1) | instskip(NEXT) | instid1(SALU_CYCLE_1)
	s_bitset1_b32 s0, 10
	s_mov_b32 m0, s0
	s_sendmsg sendmsg(MSG_INTERRUPT)
	s_mov_b32 m0, ttmp2
.LBB2_853:                              ; =>This Inner Loop Header: Depth=1
	s_sethalt 5
	s_branch .LBB2_853
.LBB2_854:
	s_trap 2
	s_sendmsg_rtn_b32 s0, sendmsg(MSG_RTN_GET_DOORBELL)
	s_mov_b32 ttmp2, m0
	s_waitcnt lgkmcnt(0)
	s_and_b32 s0, s0, 0x3ff
	s_delay_alu instid0(SALU_CYCLE_1) | instskip(NEXT) | instid1(SALU_CYCLE_1)
	s_bitset1_b32 s0, 10
	s_mov_b32 m0, s0
	s_sendmsg sendmsg(MSG_INTERRUPT)
	s_mov_b32 m0, ttmp2
.LBB2_855:                              ; =>This Inner Loop Header: Depth=1
	s_sethalt 5
	s_branch .LBB2_855
.LBB2_856:
	s_trap 2
	s_sendmsg_rtn_b32 s0, sendmsg(MSG_RTN_GET_DOORBELL)
	s_mov_b32 ttmp2, m0
	s_waitcnt lgkmcnt(0)
	s_and_b32 s0, s0, 0x3ff
	s_delay_alu instid0(SALU_CYCLE_1) | instskip(NEXT) | instid1(SALU_CYCLE_1)
	s_bitset1_b32 s0, 10
	s_mov_b32 m0, s0
	s_sendmsg sendmsg(MSG_INTERRUPT)
	s_mov_b32 m0, ttmp2
.LBB2_857:                              ; =>This Inner Loop Header: Depth=1
	s_sethalt 5
	s_branch .LBB2_857
.LBB2_858:
	s_trap 2
	s_sendmsg_rtn_b32 s0, sendmsg(MSG_RTN_GET_DOORBELL)
	s_mov_b32 ttmp2, m0
	s_waitcnt lgkmcnt(0)
	s_and_b32 s0, s0, 0x3ff
	s_delay_alu instid0(SALU_CYCLE_1) | instskip(NEXT) | instid1(SALU_CYCLE_1)
	s_bitset1_b32 s0, 10
	s_mov_b32 m0, s0
	s_sendmsg sendmsg(MSG_INTERRUPT)
	s_mov_b32 m0, ttmp2
.LBB2_859:                              ; =>This Inner Loop Header: Depth=1
	s_sethalt 5
	s_branch .LBB2_859
.LBB2_860:
	s_trap 2
	s_sendmsg_rtn_b32 s0, sendmsg(MSG_RTN_GET_DOORBELL)
	s_mov_b32 ttmp2, m0
	s_waitcnt lgkmcnt(0)
	s_and_b32 s0, s0, 0x3ff
	s_delay_alu instid0(SALU_CYCLE_1) | instskip(NEXT) | instid1(SALU_CYCLE_1)
	s_bitset1_b32 s0, 10
	s_mov_b32 m0, s0
	s_sendmsg sendmsg(MSG_INTERRUPT)
	s_mov_b32 m0, ttmp2
.LBB2_861:                              ; =>This Inner Loop Header: Depth=1
	s_sethalt 5
	s_branch .LBB2_861
.LBB2_862:
	s_trap 2
	s_sendmsg_rtn_b32 s0, sendmsg(MSG_RTN_GET_DOORBELL)
	s_mov_b32 ttmp2, m0
	s_waitcnt lgkmcnt(0)
	s_and_b32 s0, s0, 0x3ff
	s_delay_alu instid0(SALU_CYCLE_1) | instskip(NEXT) | instid1(SALU_CYCLE_1)
	s_bitset1_b32 s0, 10
	s_mov_b32 m0, s0
	s_sendmsg sendmsg(MSG_INTERRUPT)
	s_mov_b32 m0, ttmp2
.LBB2_863:                              ; =>This Inner Loop Header: Depth=1
	s_sethalt 5
	s_branch .LBB2_863
.LBB2_864:
	s_trap 2
	s_sendmsg_rtn_b32 s0, sendmsg(MSG_RTN_GET_DOORBELL)
	s_mov_b32 ttmp2, m0
	s_waitcnt lgkmcnt(0)
	s_and_b32 s0, s0, 0x3ff
	s_delay_alu instid0(SALU_CYCLE_1) | instskip(NEXT) | instid1(SALU_CYCLE_1)
	s_bitset1_b32 s0, 10
	s_mov_b32 m0, s0
	s_sendmsg sendmsg(MSG_INTERRUPT)
	s_mov_b32 m0, ttmp2
.LBB2_865:                              ; =>This Inner Loop Header: Depth=1
	s_sethalt 5
	s_branch .LBB2_865
.LBB2_866:
	s_trap 2
	s_sendmsg_rtn_b32 s0, sendmsg(MSG_RTN_GET_DOORBELL)
	s_mov_b32 ttmp2, m0
	s_waitcnt lgkmcnt(0)
	s_and_b32 s0, s0, 0x3ff
	s_delay_alu instid0(SALU_CYCLE_1) | instskip(NEXT) | instid1(SALU_CYCLE_1)
	s_bitset1_b32 s0, 10
	s_mov_b32 m0, s0
	s_sendmsg sendmsg(MSG_INTERRUPT)
	s_mov_b32 m0, ttmp2
.LBB2_867:                              ; =>This Inner Loop Header: Depth=1
	s_sethalt 5
	s_branch .LBB2_867
.LBB2_868:
	s_or_b32 exec_lo, exec_lo, s4
	s_and_saveexec_b32 s4, s5
	s_delay_alu instid0(SALU_CYCLE_1)
	s_xor_b32 s4, exec_lo, s4
	s_cbranch_execz .LBB2_870
; %bb.869:
	v_mov_b32_e32 v0, 1
	ds_store_b32 v0, v0
	s_cbranch_execnz .LBB2_912
.LBB2_870:
	s_or_b32 exec_lo, exec_lo, s3
	;;#ASMSTART
	s_wakeup
	;;#ASMEND
.LBB2_871:
	s_or_b32 exec_lo, exec_lo, s2
.LBB2_872:
	s_and_not1_saveexec_b32 s1, s1
	s_cbranch_execz .LBB2_874
; %bb.873:
	s_waitcnt lgkmcnt(0)
	s_waitcnt_vscnt null, 0x0
	buffer_gl1_inv
	buffer_gl0_inv
	s_barrier
.LBB2_874:
	s_or_b32 exec_lo, exec_lo, s0
.LBB2_875:
	s_and_not1_saveexec_b32 s21, s13
	s_cbranch_execz .LBB2_877
; %bb.876:
	s_getpc_b64 s[0:1]
	s_add_u32 s0, s0, __PRETTY_FUNCTION__._ZN10PrimitivesIf8FuncProdIfE12FanSymmetricILi1EELi0E11ProtoSimpleILi1ELi1ELi0ELi1ELi0ELi0EELi0ELb0ELi0ELi0ELi0EEC2EiiPKiS8_PKvPvmhhhP15ncclDevWorkCollP14ncclDevWorkP2pii@rel32@lo+4
	s_addc_u32 s1, s1, __PRETTY_FUNCTION__._ZN10PrimitivesIf8FuncProdIfE12FanSymmetricILi1EELi0E11ProtoSimpleILi1ELi1ELi0ELi1ELi0ELi0EELi0ELb0ELi0ELi0ELi0EEC2EiiPKiS8_PKvPvmhhhP15ncclDevWorkCollP14ncclDevWorkP2pii@rel32@hi+12
	s_delay_alu instid0(SALU_CYCLE_1) | instskip(SKIP_3) | instid1(SALU_CYCLE_1)
	v_dual_mov_b32 v0, s0 :: v_dual_mov_b32 v1, s1
	s_getpc_b64 s[2:3]
	s_add_u32 s2, s2, __assert_fail@rel32@lo+4
	s_addc_u32 s3, s3, __assert_fail@rel32@hi+12
	s_swappc_b64 s[30:31], s[2:3]
	; divergent unreachable
.LBB2_877:
	s_or_b32 exec_lo, exec_lo, s21
	scratch_load_b32 v40, off, s33          ; 4-byte Folded Reload
	v_readlane_b32 s30, v41, 0
	v_readlane_b32 s31, v41, 1
	;; [unrolled: 1-line block ×3, first 2 shown]
	s_or_saveexec_b32 s1, -1
	scratch_load_b32 v41, off, s33 offset:4 ; 4-byte Folded Reload
	s_mov_b32 exec_lo, s1
	s_add_i32 s32, s32, -16
	s_mov_b32 s33, s0
	s_waitcnt vmcnt(0) lgkmcnt(0)
	s_setpc_b64 s[30:31]
.LBB2_878:
	s_trap 2
	s_sendmsg_rtn_b32 s0, sendmsg(MSG_RTN_GET_DOORBELL)
	s_mov_b32 ttmp2, m0
	s_waitcnt lgkmcnt(0)
	s_and_b32 s0, s0, 0x3ff
	s_delay_alu instid0(SALU_CYCLE_1) | instskip(NEXT) | instid1(SALU_CYCLE_1)
	s_bitset1_b32 s0, 10
	s_mov_b32 m0, s0
	s_sendmsg sendmsg(MSG_INTERRUPT)
	s_mov_b32 m0, ttmp2
.LBB2_879:                              ; =>This Inner Loop Header: Depth=1
	s_sethalt 5
	s_branch .LBB2_879
.LBB2_880:
	s_trap 2
	s_sendmsg_rtn_b32 s0, sendmsg(MSG_RTN_GET_DOORBELL)
	s_mov_b32 ttmp2, m0
	s_waitcnt lgkmcnt(0)
	s_and_b32 s0, s0, 0x3ff
	s_delay_alu instid0(SALU_CYCLE_1) | instskip(NEXT) | instid1(SALU_CYCLE_1)
	s_bitset1_b32 s0, 10
	s_mov_b32 m0, s0
	s_sendmsg sendmsg(MSG_INTERRUPT)
	s_mov_b32 m0, ttmp2
.LBB2_881:                              ; =>This Inner Loop Header: Depth=1
	s_sethalt 5
	s_branch .LBB2_881
.LBB2_882:
	s_trap 2
	s_sendmsg_rtn_b32 s0, sendmsg(MSG_RTN_GET_DOORBELL)
	s_mov_b32 ttmp2, m0
	s_waitcnt lgkmcnt(0)
	s_and_b32 s0, s0, 0x3ff
	s_delay_alu instid0(SALU_CYCLE_1) | instskip(NEXT) | instid1(SALU_CYCLE_1)
	s_bitset1_b32 s0, 10
	s_mov_b32 m0, s0
	s_sendmsg sendmsg(MSG_INTERRUPT)
	s_mov_b32 m0, ttmp2
.LBB2_883:                              ; =>This Inner Loop Header: Depth=1
	s_sethalt 5
	s_branch .LBB2_883
.LBB2_884:
	s_trap 2
	s_sendmsg_rtn_b32 s0, sendmsg(MSG_RTN_GET_DOORBELL)
	s_mov_b32 ttmp2, m0
	s_waitcnt lgkmcnt(0)
	s_and_b32 s0, s0, 0x3ff
	s_delay_alu instid0(SALU_CYCLE_1) | instskip(NEXT) | instid1(SALU_CYCLE_1)
	s_bitset1_b32 s0, 10
	s_mov_b32 m0, s0
	s_sendmsg sendmsg(MSG_INTERRUPT)
	s_mov_b32 m0, ttmp2
.LBB2_885:                              ; =>This Inner Loop Header: Depth=1
	s_sethalt 5
	s_branch .LBB2_885
.LBB2_886:
	s_trap 2
	s_sendmsg_rtn_b32 s0, sendmsg(MSG_RTN_GET_DOORBELL)
	s_mov_b32 ttmp2, m0
	s_waitcnt lgkmcnt(0)
	s_and_b32 s0, s0, 0x3ff
	s_delay_alu instid0(SALU_CYCLE_1) | instskip(NEXT) | instid1(SALU_CYCLE_1)
	s_bitset1_b32 s0, 10
	s_mov_b32 m0, s0
	s_sendmsg sendmsg(MSG_INTERRUPT)
	s_mov_b32 m0, ttmp2
.LBB2_887:                              ; =>This Inner Loop Header: Depth=1
	s_sethalt 5
	s_branch .LBB2_887
.LBB2_888:
	s_trap 2
	s_sendmsg_rtn_b32 s0, sendmsg(MSG_RTN_GET_DOORBELL)
	s_mov_b32 ttmp2, m0
	s_waitcnt lgkmcnt(0)
	s_and_b32 s0, s0, 0x3ff
	s_delay_alu instid0(SALU_CYCLE_1) | instskip(NEXT) | instid1(SALU_CYCLE_1)
	s_bitset1_b32 s0, 10
	s_mov_b32 m0, s0
	s_sendmsg sendmsg(MSG_INTERRUPT)
	s_mov_b32 m0, ttmp2
.LBB2_889:                              ; =>This Inner Loop Header: Depth=1
	s_sethalt 5
	s_branch .LBB2_889
.LBB2_890:
	s_trap 2
	s_sendmsg_rtn_b32 s0, sendmsg(MSG_RTN_GET_DOORBELL)
	s_mov_b32 ttmp2, m0
	s_waitcnt lgkmcnt(0)
	s_and_b32 s0, s0, 0x3ff
	s_delay_alu instid0(SALU_CYCLE_1) | instskip(NEXT) | instid1(SALU_CYCLE_1)
	s_bitset1_b32 s0, 10
	s_mov_b32 m0, s0
	s_sendmsg sendmsg(MSG_INTERRUPT)
	s_mov_b32 m0, ttmp2
.LBB2_891:                              ; =>This Inner Loop Header: Depth=1
	s_sethalt 5
	s_branch .LBB2_891
.LBB2_892:
	s_trap 2
	s_sendmsg_rtn_b32 s0, sendmsg(MSG_RTN_GET_DOORBELL)
	s_mov_b32 ttmp2, m0
	s_waitcnt lgkmcnt(0)
	s_and_b32 s0, s0, 0x3ff
	s_delay_alu instid0(SALU_CYCLE_1) | instskip(NEXT) | instid1(SALU_CYCLE_1)
	s_bitset1_b32 s0, 10
	s_mov_b32 m0, s0
	s_sendmsg sendmsg(MSG_INTERRUPT)
	s_mov_b32 m0, ttmp2
.LBB2_893:                              ; =>This Inner Loop Header: Depth=1
	s_sethalt 5
	s_branch .LBB2_893
.LBB2_894:
	s_trap 2
	s_sendmsg_rtn_b32 s0, sendmsg(MSG_RTN_GET_DOORBELL)
	s_mov_b32 ttmp2, m0
	s_waitcnt lgkmcnt(0)
	s_and_b32 s0, s0, 0x3ff
	s_delay_alu instid0(SALU_CYCLE_1) | instskip(NEXT) | instid1(SALU_CYCLE_1)
	s_bitset1_b32 s0, 10
	s_mov_b32 m0, s0
	s_sendmsg sendmsg(MSG_INTERRUPT)
	s_mov_b32 m0, ttmp2
.LBB2_895:                              ; =>This Inner Loop Header: Depth=1
	s_sethalt 5
	s_branch .LBB2_895
.LBB2_896:
	s_trap 2
	s_sendmsg_rtn_b32 s0, sendmsg(MSG_RTN_GET_DOORBELL)
	s_mov_b32 ttmp2, m0
	s_waitcnt lgkmcnt(0)
	s_and_b32 s0, s0, 0x3ff
	s_delay_alu instid0(SALU_CYCLE_1) | instskip(NEXT) | instid1(SALU_CYCLE_1)
	s_bitset1_b32 s0, 10
	s_mov_b32 m0, s0
	s_sendmsg sendmsg(MSG_INTERRUPT)
	s_mov_b32 m0, ttmp2
.LBB2_897:                              ; =>This Inner Loop Header: Depth=1
	s_sethalt 5
	s_branch .LBB2_897
.LBB2_898:
	s_trap 2
	s_sendmsg_rtn_b32 s0, sendmsg(MSG_RTN_GET_DOORBELL)
	s_mov_b32 ttmp2, m0
	s_waitcnt lgkmcnt(0)
	s_and_b32 s0, s0, 0x3ff
	s_delay_alu instid0(SALU_CYCLE_1) | instskip(NEXT) | instid1(SALU_CYCLE_1)
	s_bitset1_b32 s0, 10
	s_mov_b32 m0, s0
	s_sendmsg sendmsg(MSG_INTERRUPT)
	s_mov_b32 m0, ttmp2
.LBB2_899:                              ; =>This Inner Loop Header: Depth=1
	s_sethalt 5
	s_branch .LBB2_899
.LBB2_900:
	s_trap 2
	s_sendmsg_rtn_b32 s0, sendmsg(MSG_RTN_GET_DOORBELL)
	s_mov_b32 ttmp2, m0
	s_waitcnt lgkmcnt(0)
	s_and_b32 s0, s0, 0x3ff
	s_delay_alu instid0(SALU_CYCLE_1) | instskip(NEXT) | instid1(SALU_CYCLE_1)
	s_bitset1_b32 s0, 10
	s_mov_b32 m0, s0
	s_sendmsg sendmsg(MSG_INTERRUPT)
	s_mov_b32 m0, ttmp2
.LBB2_901:                              ; =>This Inner Loop Header: Depth=1
	s_sethalt 5
	s_branch .LBB2_901
.LBB2_902:
	s_trap 2
	s_sendmsg_rtn_b32 s0, sendmsg(MSG_RTN_GET_DOORBELL)
	s_mov_b32 ttmp2, m0
	s_waitcnt lgkmcnt(0)
	s_and_b32 s0, s0, 0x3ff
	s_delay_alu instid0(SALU_CYCLE_1) | instskip(NEXT) | instid1(SALU_CYCLE_1)
	s_bitset1_b32 s0, 10
	s_mov_b32 m0, s0
	s_sendmsg sendmsg(MSG_INTERRUPT)
	s_mov_b32 m0, ttmp2
.LBB2_903:                              ; =>This Inner Loop Header: Depth=1
	s_sethalt 5
	s_branch .LBB2_903
.LBB2_904:
	s_trap 2
	s_sendmsg_rtn_b32 s0, sendmsg(MSG_RTN_GET_DOORBELL)
	s_mov_b32 ttmp2, m0
	s_waitcnt lgkmcnt(0)
	s_and_b32 s0, s0, 0x3ff
	s_delay_alu instid0(SALU_CYCLE_1) | instskip(NEXT) | instid1(SALU_CYCLE_1)
	s_bitset1_b32 s0, 10
	s_mov_b32 m0, s0
	s_sendmsg sendmsg(MSG_INTERRUPT)
	s_mov_b32 m0, ttmp2
.LBB2_905:                              ; =>This Inner Loop Header: Depth=1
	s_sethalt 5
	s_branch .LBB2_905
.LBB2_906:
	s_trap 2
	s_sendmsg_rtn_b32 s0, sendmsg(MSG_RTN_GET_DOORBELL)
	s_mov_b32 ttmp2, m0
	s_waitcnt lgkmcnt(0)
	s_and_b32 s0, s0, 0x3ff
	s_delay_alu instid0(SALU_CYCLE_1) | instskip(NEXT) | instid1(SALU_CYCLE_1)
	s_bitset1_b32 s0, 10
	s_mov_b32 m0, s0
	s_sendmsg sendmsg(MSG_INTERRUPT)
	s_mov_b32 m0, ttmp2
.LBB2_907:                              ; =>This Inner Loop Header: Depth=1
	s_sethalt 5
	s_branch .LBB2_907
.LBB2_908:
	s_trap 2
	s_sendmsg_rtn_b32 s0, sendmsg(MSG_RTN_GET_DOORBELL)
	s_mov_b32 ttmp2, m0
	s_waitcnt lgkmcnt(0)
	s_and_b32 s0, s0, 0x3ff
	s_delay_alu instid0(SALU_CYCLE_1) | instskip(NEXT) | instid1(SALU_CYCLE_1)
	s_bitset1_b32 s0, 10
	s_mov_b32 m0, s0
	s_sendmsg sendmsg(MSG_INTERRUPT)
	s_mov_b32 m0, ttmp2
.LBB2_909:                              ; =>This Inner Loop Header: Depth=1
	s_sethalt 5
	s_branch .LBB2_909
.LBB2_910:
	s_trap 2
	s_sendmsg_rtn_b32 s0, sendmsg(MSG_RTN_GET_DOORBELL)
	s_mov_b32 ttmp2, m0
	s_waitcnt lgkmcnt(0)
	s_and_b32 s0, s0, 0x3ff
	s_delay_alu instid0(SALU_CYCLE_1) | instskip(NEXT) | instid1(SALU_CYCLE_1)
	s_bitset1_b32 s0, 10
	s_mov_b32 m0, s0
	s_sendmsg sendmsg(MSG_INTERRUPT)
	s_mov_b32 m0, ttmp2
.LBB2_911:                              ; =>This Inner Loop Header: Depth=1
	s_sethalt 5
	s_branch .LBB2_911
.LBB2_912:
	s_trap 2
	s_sendmsg_rtn_b32 s0, sendmsg(MSG_RTN_GET_DOORBELL)
	s_mov_b32 ttmp2, m0
	s_waitcnt lgkmcnt(0)
	s_and_b32 s0, s0, 0x3ff
	s_delay_alu instid0(SALU_CYCLE_1) | instskip(NEXT) | instid1(SALU_CYCLE_1)
	s_bitset1_b32 s0, 10
	s_mov_b32 m0, s0
	s_sendmsg sendmsg(MSG_INTERRUPT)
	s_mov_b32 m0, ttmp2
.LBB2_913:                              ; =>This Inner Loop Header: Depth=1
	s_sethalt 5
	s_branch .LBB2_913
.LBB2_914:
	s_trap 2
	s_sendmsg_rtn_b32 s0, sendmsg(MSG_RTN_GET_DOORBELL)
	s_mov_b32 ttmp2, m0
	s_waitcnt lgkmcnt(0)
	s_and_b32 s0, s0, 0x3ff
	s_delay_alu instid0(SALU_CYCLE_1) | instskip(NEXT) | instid1(SALU_CYCLE_1)
	s_bitset1_b32 s0, 10
	s_mov_b32 m0, s0
	s_sendmsg sendmsg(MSG_INTERRUPT)
	s_mov_b32 m0, ttmp2
.LBB2_915:                              ; =>This Inner Loop Header: Depth=1
	s_sethalt 5
	s_branch .LBB2_915
.LBB2_916:
	s_trap 2
	s_sendmsg_rtn_b32 s0, sendmsg(MSG_RTN_GET_DOORBELL)
	s_mov_b32 ttmp2, m0
	s_waitcnt lgkmcnt(0)
	s_and_b32 s0, s0, 0x3ff
	s_delay_alu instid0(SALU_CYCLE_1) | instskip(NEXT) | instid1(SALU_CYCLE_1)
	s_bitset1_b32 s0, 10
	s_mov_b32 m0, s0
	s_sendmsg sendmsg(MSG_INTERRUPT)
	s_mov_b32 m0, ttmp2
.LBB2_917:                              ; =>This Inner Loop Header: Depth=1
	s_sethalt 5
	s_branch .LBB2_917
.LBB2_918:
	s_trap 2
	s_sendmsg_rtn_b32 s0, sendmsg(MSG_RTN_GET_DOORBELL)
	s_mov_b32 ttmp2, m0
	s_waitcnt lgkmcnt(0)
	s_and_b32 s0, s0, 0x3ff
	s_delay_alu instid0(SALU_CYCLE_1) | instskip(NEXT) | instid1(SALU_CYCLE_1)
	s_bitset1_b32 s0, 10
	s_mov_b32 m0, s0
	s_sendmsg sendmsg(MSG_INTERRUPT)
	s_mov_b32 m0, ttmp2
.LBB2_919:                              ; =>This Inner Loop Header: Depth=1
	s_sethalt 5
	s_branch .LBB2_919
.LBB2_920:
	s_trap 2
	s_sendmsg_rtn_b32 s0, sendmsg(MSG_RTN_GET_DOORBELL)
	s_mov_b32 ttmp2, m0
	s_waitcnt lgkmcnt(0)
	s_and_b32 s0, s0, 0x3ff
	s_delay_alu instid0(SALU_CYCLE_1) | instskip(NEXT) | instid1(SALU_CYCLE_1)
	s_bitset1_b32 s0, 10
	s_mov_b32 m0, s0
	s_sendmsg sendmsg(MSG_INTERRUPT)
	s_mov_b32 m0, ttmp2
.LBB2_921:                              ; =>This Inner Loop Header: Depth=1
	s_sethalt 5
	s_branch .LBB2_921
.LBB2_922:
	s_trap 2
	s_sendmsg_rtn_b32 s0, sendmsg(MSG_RTN_GET_DOORBELL)
	s_mov_b32 ttmp2, m0
	s_waitcnt lgkmcnt(0)
	s_and_b32 s0, s0, 0x3ff
	s_delay_alu instid0(SALU_CYCLE_1) | instskip(NEXT) | instid1(SALU_CYCLE_1)
	s_bitset1_b32 s0, 10
	s_mov_b32 m0, s0
	s_sendmsg sendmsg(MSG_INTERRUPT)
	s_mov_b32 m0, ttmp2
.LBB2_923:                              ; =>This Inner Loop Header: Depth=1
	s_sethalt 5
	s_branch .LBB2_923
.LBB2_924:
	s_trap 2
	s_sendmsg_rtn_b32 s0, sendmsg(MSG_RTN_GET_DOORBELL)
	s_mov_b32 ttmp2, m0
	s_waitcnt lgkmcnt(0)
	s_and_b32 s0, s0, 0x3ff
	s_delay_alu instid0(SALU_CYCLE_1) | instskip(NEXT) | instid1(SALU_CYCLE_1)
	s_bitset1_b32 s0, 10
	s_mov_b32 m0, s0
	s_sendmsg sendmsg(MSG_INTERRUPT)
	s_mov_b32 m0, ttmp2
.LBB2_925:                              ; =>This Inner Loop Header: Depth=1
	s_sethalt 5
	s_branch .LBB2_925
.LBB2_926:
	s_trap 2
	s_sendmsg_rtn_b32 s0, sendmsg(MSG_RTN_GET_DOORBELL)
	s_mov_b32 ttmp2, m0
	s_waitcnt lgkmcnt(0)
	s_and_b32 s0, s0, 0x3ff
	s_delay_alu instid0(SALU_CYCLE_1) | instskip(NEXT) | instid1(SALU_CYCLE_1)
	s_bitset1_b32 s0, 10
	s_mov_b32 m0, s0
	s_sendmsg sendmsg(MSG_INTERRUPT)
	s_mov_b32 m0, ttmp2
.LBB2_927:                              ; =>This Inner Loop Header: Depth=1
	s_sethalt 5
	s_branch .LBB2_927
.LBB2_928:
	s_trap 2
	s_sendmsg_rtn_b32 s0, sendmsg(MSG_RTN_GET_DOORBELL)
	s_mov_b32 ttmp2, m0
	s_waitcnt lgkmcnt(0)
	s_and_b32 s0, s0, 0x3ff
	s_delay_alu instid0(SALU_CYCLE_1) | instskip(NEXT) | instid1(SALU_CYCLE_1)
	s_bitset1_b32 s0, 10
	s_mov_b32 m0, s0
	s_sendmsg sendmsg(MSG_INTERRUPT)
	s_mov_b32 m0, ttmp2
.LBB2_929:                              ; =>This Inner Loop Header: Depth=1
	s_sethalt 5
	s_branch .LBB2_929
.LBB2_930:
	s_trap 2
	s_sendmsg_rtn_b32 s0, sendmsg(MSG_RTN_GET_DOORBELL)
	s_mov_b32 ttmp2, m0
	s_waitcnt lgkmcnt(0)
	s_and_b32 s0, s0, 0x3ff
	s_delay_alu instid0(SALU_CYCLE_1) | instskip(NEXT) | instid1(SALU_CYCLE_1)
	s_bitset1_b32 s0, 10
	s_mov_b32 m0, s0
	s_sendmsg sendmsg(MSG_INTERRUPT)
	s_mov_b32 m0, ttmp2
.LBB2_931:                              ; =>This Inner Loop Header: Depth=1
	s_sethalt 5
	s_branch .LBB2_931
.LBB2_932:
	s_trap 2
	s_sendmsg_rtn_b32 s0, sendmsg(MSG_RTN_GET_DOORBELL)
	s_mov_b32 ttmp2, m0
	s_waitcnt lgkmcnt(0)
	s_and_b32 s0, s0, 0x3ff
	s_delay_alu instid0(SALU_CYCLE_1) | instskip(NEXT) | instid1(SALU_CYCLE_1)
	s_bitset1_b32 s0, 10
	s_mov_b32 m0, s0
	s_sendmsg sendmsg(MSG_INTERRUPT)
	s_mov_b32 m0, ttmp2
.LBB2_933:                              ; =>This Inner Loop Header: Depth=1
	s_sethalt 5
	s_branch .LBB2_933
.LBB2_934:
	s_trap 2
	s_sendmsg_rtn_b32 s0, sendmsg(MSG_RTN_GET_DOORBELL)
	s_mov_b32 ttmp2, m0
	s_waitcnt lgkmcnt(0)
	s_and_b32 s0, s0, 0x3ff
	s_delay_alu instid0(SALU_CYCLE_1) | instskip(NEXT) | instid1(SALU_CYCLE_1)
	s_bitset1_b32 s0, 10
	s_mov_b32 m0, s0
	s_sendmsg sendmsg(MSG_INTERRUPT)
	s_mov_b32 m0, ttmp2
.LBB2_935:                              ; =>This Inner Loop Header: Depth=1
	s_sethalt 5
	s_branch .LBB2_935
.LBB2_936:
	s_trap 2
	s_sendmsg_rtn_b32 s0, sendmsg(MSG_RTN_GET_DOORBELL)
	s_mov_b32 ttmp2, m0
	s_waitcnt lgkmcnt(0)
	s_and_b32 s0, s0, 0x3ff
	s_delay_alu instid0(SALU_CYCLE_1) | instskip(NEXT) | instid1(SALU_CYCLE_1)
	s_bitset1_b32 s0, 10
	s_mov_b32 m0, s0
	s_sendmsg sendmsg(MSG_INTERRUPT)
	s_mov_b32 m0, ttmp2
.LBB2_937:                              ; =>This Inner Loop Header: Depth=1
	s_sethalt 5
	s_branch .LBB2_937
.LBB2_938:
	s_trap 2
	s_sendmsg_rtn_b32 s0, sendmsg(MSG_RTN_GET_DOORBELL)
	s_mov_b32 ttmp2, m0
	s_waitcnt lgkmcnt(0)
	s_and_b32 s0, s0, 0x3ff
	s_delay_alu instid0(SALU_CYCLE_1) | instskip(NEXT) | instid1(SALU_CYCLE_1)
	s_bitset1_b32 s0, 10
	s_mov_b32 m0, s0
	s_sendmsg sendmsg(MSG_INTERRUPT)
	s_mov_b32 m0, ttmp2
.LBB2_939:                              ; =>This Inner Loop Header: Depth=1
	s_sethalt 5
	s_branch .LBB2_939
.LBB2_940:
	s_trap 2
	s_sendmsg_rtn_b32 s0, sendmsg(MSG_RTN_GET_DOORBELL)
	s_mov_b32 ttmp2, m0
	s_waitcnt lgkmcnt(0)
	s_and_b32 s0, s0, 0x3ff
	s_delay_alu instid0(SALU_CYCLE_1) | instskip(NEXT) | instid1(SALU_CYCLE_1)
	s_bitset1_b32 s0, 10
	s_mov_b32 m0, s0
	s_sendmsg sendmsg(MSG_INTERRUPT)
	s_mov_b32 m0, ttmp2
.LBB2_941:                              ; =>This Inner Loop Header: Depth=1
	s_sethalt 5
	s_branch .LBB2_941
.Lfunc_end2:
	.size	_ZN12_GLOBAL__N_17runRingIf8FuncProdIfE11ProtoSimpleILi1ELi1ELi0ELi1ELi0ELi0EELi0ELi1ELi0EEEviiP15ncclDevWorkColl, .Lfunc_end2-_ZN12_GLOBAL__N_17runRingIf8FuncProdIfE11ProtoSimpleILi1ELi1ELi0ELi1ELi0ELi0EELi0ELi1ELi0EEEviiP15ncclDevWorkColl
                                        ; -- End function
	.section	.AMDGPU.csdata,"",@progbits
; Function info:
; codeLenInByte = 26392
; NumSgprs: 36
; NumVgprs: 104
; ScratchSize: 80
; MemoryBound: 1
	.text
	.p2align	2                               ; -- Begin function _Z45ncclDevFunc_Reduce_RING_SIMPLE_Prod_f32_0_0_1v
	.type	_Z45ncclDevFunc_Reduce_RING_SIMPLE_Prod_f32_0_0_1v,@function
_Z45ncclDevFunc_Reduce_RING_SIMPLE_Prod_f32_0_0_1v: ; @_Z45ncclDevFunc_Reduce_RING_SIMPLE_Prod_f32_0_0_1v
; %bb.0:
	s_waitcnt vmcnt(0) expcnt(0) lgkmcnt(0)
	s_mov_b32 s0, s33
	s_mov_b32 s33, s32
	s_or_saveexec_b32 s1, -1
	scratch_store_b32 off, v40, s33 offset:4 ; 4-byte Folded Spill
	s_mov_b32 exec_lo, s1
	v_writelane_b32 v40, s0, 8
	s_add_i32 s32, s32, 16
	scratch_store_b32 off, v41, s33         ; 4-byte Folded Spill
	v_writelane_b32 v40, s34, 0
	v_writelane_b32 v40, s35, 1
	;; [unrolled: 1-line block ×8, first 2 shown]
	s_cbranch_execnz .LBB3_13
; %bb.1:
	ds_load_b32 v0, v0
	s_waitcnt lgkmcnt(0)
	v_cmp_gt_i32_e32 vcc_lo, 1, v0
	s_cbranch_vccnz .LBB3_12
; %bb.2:
	v_and_b32_e32 v112, 0x3ff, v31
	s_mov_b32 s38, 0
	s_mov_b64 s[36:37], src_shared_base
.LBB3_3:                                ; =>This Inner Loop Header: Depth=1
	s_cbranch_execnz .LBB3_15
; %bb.4:                                ;   in Loop: Header=BB3_3 Depth=1
	ds_load_b32 v0, v0
	s_cmp_eq_u32 s38, 0
	s_cbranch_scc1 .LBB3_8
; %bb.5:                                ;   in Loop: Header=BB3_3 Depth=1
	s_cbranch_execnz .LBB3_19
; %bb.6:                                ;   in Loop: Header=BB3_3 Depth=1
	s_waitcnt lgkmcnt(0)
	ds_load_b32 v1, v0
	s_waitcnt lgkmcnt(0)
	v_xor_b32_e32 v1, v1, v0
	s_delay_alu instid0(VALU_DEP_1) | instskip(NEXT) | instid1(VALU_DEP_1)
	v_and_b32_e32 v1, 0xff0000, v1
	v_cmp_eq_u32_e32 vcc_lo, 0, v1
	s_cbranch_vccnz .LBB3_8
; %bb.7:                                ;   in Loop: Header=BB3_3 Depth=1
	s_waitcnt_vscnt null, 0x0
	s_barrier
	buffer_gl0_inv
	ds_load_b32 v0, v0
.LBB3_8:                                ;   in Loop: Header=BB3_3 Depth=1
	s_waitcnt lgkmcnt(0)
	v_lshrrev_b32_e32 v0, 11, v0
	s_mov_b32 s39, exec_lo
	s_delay_alu instid0(VALU_DEP_1) | instskip(NEXT) | instid1(VALU_DEP_1)
	v_and_b32_e32 v1, 0x1fe0, v0
	v_cmpx_lt_u32_e64 v112, v1
	s_cbranch_execz .LBB3_10
; %bb.9:                                ;   in Loop: Header=BB3_3 Depth=1
	v_dual_mov_b32 v113, v31 :: v_dual_mov_b32 v0, v112
	v_mov_b32_e32 v3, s37
	s_getpc_b64 s[0:1]
	s_add_u32 s0, s0, _ZN12_GLOBAL__N_17runRingIf8FuncProdIfE11ProtoSimpleILi1ELi1ELi0ELi1ELi0ELi0EELi0ELi1ELi0EEEviiP15ncclDevWorkColl@rel32@lo+4
	s_addc_u32 s1, s1, _ZN12_GLOBAL__N_17runRingIf8FuncProdIfE11ProtoSimpleILi1ELi1ELi0ELi1ELi0ELi0EELi0ELi1ELi0EEEviiP15ncclDevWorkColl@rel32@hi+12
	s_mov_b64 s[34:35], s[8:9]
	s_mov_b32 s36, s12
	s_swappc_b64 s[30:31], s[0:1]
	v_mov_b32_e32 v31, v113
	s_mov_b32 s12, s36
	s_mov_b64 s[8:9], s[34:35]
.LBB3_10:                               ;   in Loop: Header=BB3_3 Depth=1
	s_or_b32 exec_lo, exec_lo, s39
	s_cbranch_execnz .LBB3_17
; %bb.11:                               ;   in Loop: Header=BB3_3 Depth=1
	ds_load_b32 v0, v0
	s_add_i32 s38, s38, 1
	s_waitcnt lgkmcnt(0)
	v_cmp_lt_i32_e32 vcc_lo, s38, v0
	s_cbranch_vccnz .LBB3_3
.LBB3_12:
	scratch_load_b32 v41, off, s33          ; 4-byte Folded Reload
	v_readlane_b32 s30, v40, 6
	v_readlane_b32 s31, v40, 7
	v_readlane_b32 s39, v40, 5
	v_readlane_b32 s38, v40, 4
	v_readlane_b32 s37, v40, 3
	v_readlane_b32 s36, v40, 2
	v_readlane_b32 s35, v40, 1
	v_readlane_b32 s34, v40, 0
	v_readlane_b32 s0, v40, 8
	s_or_saveexec_b32 s1, -1
	scratch_load_b32 v40, off, s33 offset:4 ; 4-byte Folded Reload
	s_mov_b32 exec_lo, s1
	s_add_i32 s32, s32, -16
	s_mov_b32 s33, s0
	s_waitcnt vmcnt(0)
	s_setpc_b64 s[30:31]
.LBB3_13:
	s_trap 2
	s_sendmsg_rtn_b32 s0, sendmsg(MSG_RTN_GET_DOORBELL)
	s_mov_b32 ttmp2, m0
	s_waitcnt lgkmcnt(0)
	s_and_b32 s0, s0, 0x3ff
	s_delay_alu instid0(SALU_CYCLE_1) | instskip(NEXT) | instid1(SALU_CYCLE_1)
	s_bitset1_b32 s0, 10
	s_mov_b32 m0, s0
	s_sendmsg sendmsg(MSG_INTERRUPT)
	s_mov_b32 m0, ttmp2
.LBB3_14:                               ; =>This Inner Loop Header: Depth=1
	s_sethalt 5
	s_branch .LBB3_14
.LBB3_15:
	s_trap 2
	s_sendmsg_rtn_b32 s0, sendmsg(MSG_RTN_GET_DOORBELL)
	s_mov_b32 ttmp2, m0
	s_waitcnt lgkmcnt(0)
	s_and_b32 s0, s0, 0x3ff
	s_delay_alu instid0(SALU_CYCLE_1) | instskip(NEXT) | instid1(SALU_CYCLE_1)
	s_bitset1_b32 s0, 10
	s_mov_b32 m0, s0
	s_sendmsg sendmsg(MSG_INTERRUPT)
	s_mov_b32 m0, ttmp2
.LBB3_16:                               ; =>This Inner Loop Header: Depth=1
	s_sethalt 5
	s_branch .LBB3_16
.LBB3_17:
	s_trap 2
	s_sendmsg_rtn_b32 s0, sendmsg(MSG_RTN_GET_DOORBELL)
	s_mov_b32 ttmp2, m0
	s_waitcnt lgkmcnt(0)
	s_and_b32 s0, s0, 0x3ff
	s_delay_alu instid0(SALU_CYCLE_1) | instskip(NEXT) | instid1(SALU_CYCLE_1)
	s_bitset1_b32 s0, 10
	s_mov_b32 m0, s0
	s_sendmsg sendmsg(MSG_INTERRUPT)
	s_mov_b32 m0, ttmp2
.LBB3_18:                               ; =>This Inner Loop Header: Depth=1
	s_sethalt 5
	s_branch .LBB3_18
.LBB3_19:
	s_trap 2
	s_sendmsg_rtn_b32 s0, sendmsg(MSG_RTN_GET_DOORBELL)
	s_mov_b32 ttmp2, m0
	s_waitcnt lgkmcnt(0)
	s_and_b32 s0, s0, 0x3ff
	s_delay_alu instid0(SALU_CYCLE_1) | instskip(NEXT) | instid1(SALU_CYCLE_1)
	s_bitset1_b32 s0, 10
	s_mov_b32 m0, s0
	s_sendmsg sendmsg(MSG_INTERRUPT)
	s_mov_b32 m0, ttmp2
.LBB3_20:                               ; =>This Inner Loop Header: Depth=1
	s_sethalt 5
	s_branch .LBB3_20
.Lfunc_end3:
	.size	_Z45ncclDevFunc_Reduce_RING_SIMPLE_Prod_f32_0_0_1v, .Lfunc_end3-_Z45ncclDevFunc_Reduce_RING_SIMPLE_Prod_f32_0_0_1v
                                        ; -- End function
	.section	.AMDGPU.csdata,"",@progbits
; Function info:
; codeLenInByte = 684
; NumSgprs: 42
; NumVgprs: 114
; ScratchSize: 96
; MemoryBound: 0
	.text
	.p2align	2                               ; -- Begin function _ZN12_GLOBAL__N_17runRingIf8FuncProdIfE11ProtoSimpleILi1ELi1ELi0ELi2ELi0ELi0EELi0ELi2ELi0EEEviiP15ncclDevWorkColl
	.type	_ZN12_GLOBAL__N_17runRingIf8FuncProdIfE11ProtoSimpleILi1ELi1ELi0ELi2ELi0ELi0EELi0ELi2ELi0EEEviiP15ncclDevWorkColl,@function
_ZN12_GLOBAL__N_17runRingIf8FuncProdIfE11ProtoSimpleILi1ELi1ELi0ELi2ELi0ELi0EELi0ELi2ELi0EEEviiP15ncclDevWorkColl: ; @_ZN12_GLOBAL__N_17runRingIf8FuncProdIfE11ProtoSimpleILi1ELi1ELi0ELi2ELi0ELi0EELi0ELi2ELi0EEEviiP15ncclDevWorkColl
; %bb.0:
	s_waitcnt vmcnt(0) expcnt(0) lgkmcnt(0)
	s_mov_b32 s0, s33
	s_mov_b32 s33, s32
	s_or_saveexec_b32 s1, -1
	scratch_store_b32 off, v41, s33 offset:4 ; 4-byte Folded Spill
	s_mov_b32 exec_lo, s1
	v_writelane_b32 v41, s0, 2
	s_add_i32 s32, s32, 16
	scratch_store_b32 off, v40, s33         ; 4-byte Folded Spill
	v_writelane_b32 v41, s30, 0
	v_writelane_b32 v41, s31, 1
	s_cbranch_execnz .LBB4_660
; %bb.1:
	ds_load_b64 v[26:27], v0
	ds_load_b32 v9, v0
	flat_load_b64 v[6:7], v[2:3]
	s_mov_b32 s0, exec_lo
                                        ; implicit-def: $vgpr29_vgpr30
                                        ; implicit-def: $vgpr24_vgpr25
	s_waitcnt lgkmcnt(2)
	v_ashrrev_i32_e32 v5, 31, v27
	v_mov_b32_e32 v4, v27
	s_delay_alu instid0(VALU_DEP_1) | instskip(NEXT) | instid1(VALU_DEP_1)
	v_lshlrev_b64 v[4:5], 2, v[4:5]
	v_add_co_u32 v4, vcc_lo, v26, v4
	s_delay_alu instid0(VALU_DEP_2) | instskip(NEXT) | instid1(VALU_DEP_2)
	v_add_co_ci_u32_e32 v5, vcc_lo, v27, v5, vcc_lo
	v_add_co_u32 v4, vcc_lo, -4, v4
	s_delay_alu instid0(VALU_DEP_2) | instskip(SKIP_4) | instid1(VALU_DEP_1)
	v_add_co_ci_u32_e32 v5, vcc_lo, -1, v5, vcc_lo
	flat_load_u16 v28, v[2:3] offset:8
	flat_load_b32 v36, v[4:5]
                                        ; implicit-def: $vgpr4_vgpr5
	s_waitcnt vmcnt(2) lgkmcnt(2)
	v_dual_mov_b32 v27, v7 :: v_dual_and_b32 v8, 0xff, v6
	v_cmpx_ne_u32_e64 v8, v9
	s_xor_b32 s0, exec_lo, s0
	s_cbranch_execnz .LBB4_662
; %bb.2:
	s_and_not1_saveexec_b32 s0, s0
	s_cbranch_execnz .LBB4_667
.LBB4_3:
	s_or_b32 exec_lo, exec_lo, s0
	s_cbranch_execnz .LBB4_668
.LBB4_4:
	ds_load_b64 v[6:7], v0
	s_mov_b32 s1, exec_lo
	s_waitcnt lgkmcnt(0)
	v_cmp_ne_u32_e32 vcc_lo, -1, v6
	v_cndmask_b32_e64 v30, 0, 1, vcc_lo
	v_cmp_ne_u32_e32 vcc_lo, -1, v7
	s_delay_alu instid0(VALU_DEP_2) | instskip(NEXT) | instid1(VALU_DEP_1)
	v_add_co_ci_u32_e64 v6, s0, 0, v30, vcc_lo
	v_lshlrev_b32_e32 v7, 1, v6
	s_delay_alu instid0(VALU_DEP_1)
	v_cmpx_le_i32_e64 v7, v1
	s_xor_b32 s13, exec_lo, s1
	s_cbranch_execz .LBB4_879
; %bb.5:
	s_clause 0x1
	flat_load_b128 v[10:13], v[2:3] offset:16
	flat_load_b64 v[32:33], v[2:3] offset:104
	s_cbranch_execnz .LBB4_670
; %bb.6:
	s_load_b32 s0, s[8:9], 0x0
	v_mov_b32_e32 v2, 0
	v_mov_b32_e32 v38, 4
	s_mov_b32 s2, exec_lo
	s_waitcnt lgkmcnt(0)
	s_cmp_lt_u32 s12, s0
	s_cselect_b32 s0, 12, 18
	s_delay_alu instid0(SALU_CYCLE_1)
	s_add_u32 s0, s8, s0
	s_addc_u32 s1, s9, 0
	global_load_u16 v37, v2, s[0:1]
	ds_load_b32 v2, v0
	s_waitcnt lgkmcnt(0)
	v_readfirstlane_b32 s1, v2
	v_cmpx_ge_i32_e64 v0, v30
	s_cbranch_execz .LBB4_16
; %bb.7:
	v_cmp_le_u32_e64 s0, v6, v0
                                        ; implicit-def: $vgpr38
	s_delay_alu instid0(VALU_DEP_1) | instskip(NEXT) | instid1(SALU_CYCLE_1)
	s_and_saveexec_b32 s3, s0
	s_xor_b32 s0, exec_lo, s3
	s_cbranch_execz .LBB4_13
; %bb.8:
	v_cndmask_b32_e64 v2, 0, 1, vcc_lo
	s_mov_b32 s3, exec_lo
                                        ; implicit-def: $sgpr4
	s_delay_alu instid0(VALU_DEP_1) | instskip(NEXT) | instid1(VALU_DEP_1)
	v_sub_nc_u32_e32 v2, v1, v2
	v_cmpx_ge_u32_e64 v0, v2
	s_xor_b32 s3, exec_lo, s3
; %bb.9:
	s_mov_b32 s4, 16
                                        ; implicit-def: $vgpr6
; %bb.10:
	s_or_saveexec_b32 s3, s3
	v_mov_b32_e32 v38, s4
	s_xor_b32 exec_lo, exec_lo, s3
; %bb.11:
	v_sub_nc_u32_e32 v2, v1, v6
	s_delay_alu instid0(VALU_DEP_1) | instskip(SKIP_1) | instid1(VALU_DEP_1)
	v_cmp_ge_i32_e32 vcc_lo, v0, v2
	v_cndmask_b32_e64 v2, 0, 1, vcc_lo
	v_lshlrev_b32_e32 v38, 5, v2
; %bb.12:
	s_or_b32 exec_lo, exec_lo, s3
.LBB4_13:
	s_and_not1_saveexec_b32 s0, s0
; %bb.14:
	v_mov_b32_e32 v38, 8
; %bb.15:
	s_or_b32 exec_lo, exec_lo, s0
.LBB4_16:
	s_delay_alu instid0(SALU_CYCLE_1) | instskip(NEXT) | instid1(VALU_DEP_1)
	s_or_b32 exec_lo, exec_lo, s2
	v_and_b32_e32 v2, 36, v38
	v_mov_b32_e32 v34, -1
	s_delay_alu instid0(VALU_DEP_2)
	v_cmp_ne_u32_e32 vcc_lo, 0, v2
	s_and_saveexec_b32 s0, vcc_lo
	s_cbranch_execz .LBB4_19
; %bb.17:
	s_cbranch_execnz .LBB4_672
; %bb.18:
	ds_load_b32 v34, v0
.LBB4_19:
	s_or_b32 exec_lo, exec_lo, s0
	v_and_b32_e32 v2, 24, v38
	s_mov_b32 s2, exec_lo
	s_delay_alu instid0(VALU_DEP_1)
	v_cmpx_ne_u32_e32 0, v2
	s_cbranch_execz .LBB4_22
; %bb.20:
	s_cbranch_execnz .LBB4_674
; %bb.21:
	s_waitcnt lgkmcnt(0)
	ds_load_b32 v34, v0
.LBB4_22:
	s_or_b32 exec_lo, exec_lo, s2
	s_waitcnt vmcnt(4)
	v_lshrrev_b64 v[2:3], 31, v[27:28]
	v_mov_b32_e32 v14, 0
	v_mov_b32_e32 v15, 0
                                        ; implicit-def: $vgpr48
                                        ; implicit-def: $vgpr20_vgpr21
                                        ; implicit-def: $vgpr18_vgpr19
                                        ; implicit-def: $vgpr16_vgpr17
	s_delay_alu instid0(VALU_DEP_3) | instskip(NEXT) | instid1(VALU_DEP_2)
	v_and_b32_e32 v28, 3, v2
	v_dual_mov_b32 v6, v14 :: v_dual_mov_b32 v7, v15
                                        ; implicit-def: $vgpr2_vgpr3
	s_and_saveexec_b32 s0, vcc_lo
	s_cbranch_execz .LBB4_35
; %bb.23:
	s_cbranch_execnz .LBB4_676
; %bb.24:
	ds_load_b64 v[2:3], v0
	s_waitcnt lgkmcnt(1)
	v_ashrrev_i32_e32 v35, 31, v34
	v_and_b32_e32 v8, 0xffff, v28
	s_delay_alu instid0(VALU_DEP_2) | instskip(SKIP_1) | instid1(VALU_DEP_1)
	v_lshlrev_b64 v[6:7], 3, v[34:35]
	s_waitcnt lgkmcnt(0)
	v_add_co_u32 v2, vcc_lo, v2, v6
	s_delay_alu instid0(VALU_DEP_2)
	v_add_co_ci_u32_e32 v3, vcc_lo, v3, v7, vcc_lo
	flat_load_b64 v[2:3], v[2:3]
	s_waitcnt vmcnt(0) lgkmcnt(0)
	v_mad_u64_u32 v[6:7], null, 0xa8, v8, v[2:3]
	flat_load_b32 v2, v[6:7] offset:640
	v_add_co_u32 v14, vcc_lo, 0x1f8, v6
	v_add_co_ci_u32_e32 v15, vcc_lo, 0, v7, vcc_lo
	s_waitcnt vmcnt(0) lgkmcnt(0)
	v_cmp_eq_u32_e32 vcc_lo, 1, v2
                                        ; implicit-def: $vgpr2_vgpr3
	s_and_saveexec_b32 s2, vcc_lo
	s_cbranch_execz .LBB4_27
; %bb.25:
	flat_load_b64 v[2:3], v[14:15] offset:144
	s_waitcnt vmcnt(0) lgkmcnt(0)
	flat_load_b64 v[6:7], v[2:3]
	s_cbranch_execnz .LBB4_682
; %bb.26:
	s_waitcnt vmcnt(0) lgkmcnt(0)
	ds_store_b64 v0, v[6:7]
	flat_load_b64 v[6:7], v[2:3] offset:8
	v_or_b32_e32 v38, 0x2000, v38
	s_waitcnt vmcnt(0) lgkmcnt(0)
	ds_store_b64 v0, v[6:7]
	flat_load_b64 v[6:7], v[2:3] offset:16
	s_waitcnt vmcnt(0) lgkmcnt(0)
	ds_store_b64 v0, v[6:7]
.LBB4_27:
	s_or_b32 exec_lo, exec_lo, s2
	flat_load_b64 v[8:9], v[14:15] offset:104
	v_and_b32_e32 v6, 32, v38
	s_mov_b32 s2, exec_lo
                                        ; implicit-def: $vgpr16_vgpr17
	s_delay_alu instid0(VALU_DEP_1)
	v_cmpx_ne_u32_e32 0, v6
	s_cbranch_execz .LBB4_29
; %bb.28:
	flat_load_b64 v[16:17], v[14:15] offset:56
	s_waitcnt vmcnt(0) lgkmcnt(0)
	s_waitcnt_vscnt null, 0x0
	flat_store_b64 v[16:17], v[8:9]
.LBB4_29:
	s_or_b32 exec_lo, exec_lo, s2
	v_and_b32_e32 v18, 4, v38
	v_mov_b32_e32 v6, 0
	v_mov_b32_e32 v7, 0
                                        ; implicit-def: $vgpr48
                                        ; implicit-def: $vgpr20_vgpr21
	s_delay_alu instid0(VALU_DEP_3)
	v_cmp_ne_u32_e32 vcc_lo, 0, v18
                                        ; implicit-def: $vgpr18_vgpr19
	s_and_saveexec_b32 s2, vcc_lo
	s_cbranch_execz .LBB4_34
; %bb.30:
	v_and_b32_e32 v6, 0x800, v38
	s_mov_b32 s3, exec_lo
	s_delay_alu instid0(VALU_DEP_1)
	v_cmpx_eq_u32_e32 0, v6
	s_cbranch_execz .LBB4_33
; %bb.31:
	s_cbranch_execnz .LBB4_686
; %bb.32:
	ds_store_b64 v0, v[14:15]
.LBB4_33:
	s_or_b32 exec_lo, exec_lo, s3
	flat_load_b64 v[16:17], v[14:15] offset:48
	v_or_b32_e32 v23, 0x100, v38
	s_waitcnt vmcnt(0) lgkmcnt(0)
	flat_load_b64 v[20:21], v[16:17] glc
	s_clause 0x2
	flat_load_b32 v22, v[14:15] offset:72
	flat_load_b64 v[6:7], v[14:15] offset:96
	flat_load_b64 v[18:19], v[14:15] offset:16
	s_waitcnt vmcnt(2) lgkmcnt(2)
	v_ashrrev_i32_e32 v48, 2, v22
	s_waitcnt vmcnt(1) lgkmcnt(1)
	v_cmp_eq_u64_e32 vcc_lo, 0, v[6:7]
	v_cndmask_b32_e32 v38, v23, v38, vcc_lo
.LBB4_34:
	s_or_b32 exec_lo, exec_lo, s2
.LBB4_35:
	s_delay_alu instid0(SALU_CYCLE_1) | instskip(NEXT) | instid1(VALU_DEP_1)
	s_or_b32 exec_lo, exec_lo, s0
	v_and_b32_e32 v22, 24, v38
	s_delay_alu instid0(VALU_DEP_1)
	v_cmp_ne_u32_e32 vcc_lo, 0, v22
                                        ; implicit-def: $vgpr22_vgpr23
	s_and_saveexec_b32 s0, vcc_lo
	s_cbranch_execz .LBB4_45
; %bb.36:
	s_cbranch_execnz .LBB4_678
; %bb.37:
	ds_load_b64 v[6:7], v0
	s_waitcnt lgkmcnt(1)
	v_ashrrev_i32_e32 v35, 31, v34
	v_or_b32_e32 v22, 0x100, v38
	s_waitcnt vmcnt(0)
	s_delay_alu instid0(VALU_DEP_2) | instskip(SKIP_1) | instid1(VALU_DEP_1)
	v_lshlrev_b64 v[8:9], 3, v[34:35]
	s_waitcnt lgkmcnt(0)
	v_add_co_u32 v6, vcc_lo, v6, v8
	s_delay_alu instid0(VALU_DEP_2)
	v_add_co_ci_u32_e32 v7, vcc_lo, v7, v9, vcc_lo
	v_and_b32_e32 v8, 0xffff, v28
	flat_load_b64 v[6:7], v[6:7]
	s_waitcnt vmcnt(0) lgkmcnt(0)
	v_mad_u64_u32 v[14:15], null, 0xa8, v8, v[6:7]
	flat_load_b128 v[6:9], v[14:15] offset:96
	s_waitcnt vmcnt(0) lgkmcnt(0)
	v_cmp_eq_u64_e32 vcc_lo, 0, v[6:7]
	v_cndmask_b32_e32 v38, v22, v38, vcc_lo
	s_delay_alu instid0(VALU_DEP_1) | instskip(NEXT) | instid1(VALU_DEP_1)
	v_and_b32_e32 v22, 16, v38
	v_cmp_ne_u32_e32 vcc_lo, 0, v22
                                        ; implicit-def: $vgpr22_vgpr23
	s_and_saveexec_b32 s2, vcc_lo
; %bb.38:
	s_clause 0x2
	flat_load_b64 v[22:23], v[14:15] offset:120
	flat_load_b64 v[16:17], v[14:15] offset:48
	;; [unrolled: 1-line block ×3, first 2 shown]
; %bb.39:
	s_or_b32 exec_lo, exec_lo, s2
	v_and_b32_e32 v28, 8, v38
	s_mov_b32 s2, exec_lo
	s_delay_alu instid0(VALU_DEP_1)
	v_cmpx_ne_u32_e32 0, v28
	s_cbranch_execz .LBB4_44
; %bb.40:
	s_waitcnt vmcnt(1) lgkmcnt(1)
	v_and_b32_e32 v16, 0x800, v38
	s_mov_b32 s3, exec_lo
	s_delay_alu instid0(VALU_DEP_1)
	v_cmpx_eq_u32_e32 0, v16
	s_cbranch_execz .LBB4_43
; %bb.41:
	s_cbranch_execnz .LBB4_703
; %bb.42:
	ds_store_b64 v0, v[14:15]
.LBB4_43:
	s_or_b32 exec_lo, exec_lo, s3
	flat_load_b64 v[16:17], v[14:15] offset:56
	s_waitcnt vmcnt(0) lgkmcnt(0)
	flat_load_b64 v[20:21], v[16:17] glc
	s_clause 0x1
	flat_load_b32 v28, v[14:15] offset:72
	flat_load_b64 v[18:19], v[14:15] offset:16
	s_waitcnt vmcnt(1) lgkmcnt(1)
	v_ashrrev_i32_e32 v48, 2, v28
.LBB4_44:
	s_or_b32 exec_lo, exec_lo, s2
.LBB4_45:
	s_delay_alu instid0(SALU_CYCLE_1) | instskip(SKIP_1) | instid1(VALU_DEP_1)
	s_or_b32 exec_lo, exec_lo, s0
	v_cmp_eq_u32_e64 s0, 0, v0
	s_and_saveexec_b32 s2, s0
	s_cbranch_execz .LBB4_48
; %bb.46:
	s_waitcnt vmcnt(2)
	ds_store_2addr_b64 v0, v[12:13], v[10:11] offset1:1
	s_cbranch_execnz .LBB4_680
; %bb.47:
	v_mov_b32_e32 v10, 0
	s_delay_alu instid0(VALU_DEP_1)
	v_mov_b32_e32 v11, v10
	ds_store_b64 v0, v[10:11]
	s_waitcnt vmcnt(1)
	ds_store_b64 v0, v[32:33]
.LBB4_48:
	s_or_b32 exec_lo, exec_lo, s2
	s_ashr_i32 s2, s1, 31
	s_waitcnt vmcnt(2)
	v_dual_mov_b32 v13, 0 :: v_dual_and_b32 v12, 0xfffff80, v29
	s_lshr_b32 s2, s2, 29
	v_bfe_u32 v27, v27, 1, 30
	s_waitcnt vmcnt(0)
	v_and_b32_e32 v39, 0xffff, v37
	s_add_i32 s1, s1, s2
                                        ; implicit-def: $vgpr10_vgpr11
	s_delay_alu instid0(SALU_CYCLE_1)
	s_ashr_i32 s14, s1, 5
	s_mov_b32 s1, exec_lo
	v_cmpx_ne_u32_e64 v36, v27
	s_xor_b32 s15, exec_lo, s1
	s_cbranch_execz .LBB4_454
; %bb.49:
	v_cmp_ne_u64_e64 s1, 0, v[4:5]
                                        ; implicit-def: $vgpr10_vgpr11
	s_mov_b32 s2, exec_lo
	v_cmpx_ne_u32_e64 v26, v27
	s_xor_b32 s16, exec_lo, s2
	s_cbranch_execz .LBB4_258
; %bb.50:
	v_mov_b32_e32 v10, 0
	v_mov_b32_e32 v11, 0
	s_and_saveexec_b32 s17, s1
	s_cbranch_execz .LBB4_257
; %bb.51:
	v_cmp_ge_i32_e64 s2, v0, v1
	s_cbranch_execnz .LBB4_701
; %bb.52:
	v_ashrrev_i32_e32 v10, 31, v0
	v_lshrrev_b32_e32 v50, 5, v1
	v_dual_mov_b32 v26, 0 :: v_dual_and_b32 v11, 31, v31
	s_lshr_b32 s5, s14, 27
	s_delay_alu instid0(VALU_DEP_3) | instskip(NEXT) | instid1(VALU_DEP_3)
	v_lshrrev_b32_e32 v10, 27, v10
	v_dual_mov_b32 v71, 1 :: v_dual_lshlrev_b32 v52, 9, v50
	s_add_i32 s11, s14, s5
	v_cmp_eq_u32_e64 s5, 0, v11
	s_delay_alu instid0(VALU_DEP_3) | instskip(NEXT) | instid1(VALU_DEP_3)
	v_add_nc_u32_e32 v10, v0, v10
	v_add_nc_u32_e32 v28, 0xfffffe00, v52
	v_cmp_eq_u32_e32 vcc_lo, 32, v1
	v_ashrrev_i32_e32 v49, 31, v48
	v_cmp_ne_u32_e64 s3, 32, v1
	v_and_b32_e32 v27, 0xffffffe0, v10
	v_ashrrev_i32_e32 v51, 5, v10
	v_lshl_add_u32 v10, v50, 10, 0xfffffc00
	v_add_co_u32 v67, s10, 0x200, v28
	s_delay_alu instid0(VALU_DEP_4) | instskip(NEXT) | instid1(VALU_DEP_4)
	v_sub_nc_u32_e32 v53, v0, v27
	v_lshlrev_b32_e32 v27, 10, v51
	s_delay_alu instid0(VALU_DEP_4) | instskip(SKIP_2) | instid1(VALU_DEP_4)
	v_ashrrev_i32_e32 v11, 31, v10
	v_add_co_u32 v64, s6, 0x400, v10
	v_ashrrev_i32_e32 v10, 31, v28
	v_lshl_add_u32 v55, v53, 4, v27
	v_mov_b32_e32 v27, 0
	v_mov_b32_e32 v28, 0
	v_lshlrev_b32_e32 v54, 7, v50
	v_add_co_ci_u32_e64 v65, s6, 0, v11, s6
	v_add_co_ci_u32_e64 v68, s10, 0, v10, s10
	s_delay_alu instid0(VALU_DEP_3)
	v_add_nc_u32_e32 v11, 0xffffff80, v54
	v_cmp_le_i32_e64 s6, v53, v30
	v_cmp_lt_i32_e64 s7, v53, v30
	v_lshlrev_b64 v[29:30], 2, v[24:25]
	v_cmp_ne_u32_e64 s4, v39, v1
	v_ashrrev_i32_e32 v10, 31, v11
	v_add_co_u32 v69, s10, 0x80, v11
	v_ashrrev_i32_e32 v66, 31, v55
	s_ashr_i32 s19, s11, 5
	s_delay_alu instid0(VALU_DEP_3)
	v_add_co_ci_u32_e64 v70, s10, 0, v10, s10
	s_waitcnt lgkmcnt(2)
	v_cmp_eq_u64_e64 s10, 0, v[22:23]
	v_dual_mov_b32 v10, v27 :: v_dual_mov_b32 v11, v28
	s_mov_b32 s18, 0
	s_xor_b32 s20, vcc_lo, -1
.LBB4_53:                               ; =>This Loop Header: Depth=1
                                        ;     Child Loop BB4_63 Depth 2
                                        ;     Child Loop BB4_95 Depth 2
	;; [unrolled: 1-line block ×10, first 2 shown]
	v_sub_co_u32 v24, vcc_lo, v4, v27
	v_sub_co_ci_u32_e32 v25, vcc_lo, v5, v28, vcc_lo
	s_delay_alu instid0(VALU_DEP_1) | instskip(SKIP_2) | instid1(VALU_DEP_1)
	v_cmp_lt_u64_e32 vcc_lo, v[12:13], v[24:25]
	v_cndmask_b32_e64 v25, v25, 0, vcc_lo
	v_cndmask_b32_e32 v24, v24, v12, vcc_lo
	v_cmp_eq_u64_e32 vcc_lo, 0, v[24:25]
	v_dual_mov_b32 v25, 0 :: v_dual_add_nc_u32 v32, 15, v24
	s_or_b32 s21, s2, vcc_lo
	s_delay_alu instid0(VALU_DEP_1) | instskip(SKIP_1) | instid1(VALU_DEP_1)
	v_and_b32_e32 v32, 0x1ffffff0, v32
	s_xor_b32 s11, s21, -1
	v_max_i32_e32 v80, s19, v32
	s_and_saveexec_b32 s22, s11
	s_cbranch_execz .LBB4_195
; %bb.54:                               ;   in Loop: Header=BB4_53 Depth=1
	s_and_saveexec_b32 s11, s0
	s_cbranch_execz .LBB4_57
; %bb.55:                               ;   in Loop: Header=BB4_53 Depth=1
	s_cbranch_execnz .LBB4_729
; %bb.56:                               ;   in Loop: Header=BB4_53 Depth=1
	ds_load_b64 v[32:33], v0
	s_waitcnt lgkmcnt(1)
	v_lshlrev_b64 v[34:35], 2, v[27:28]
	s_waitcnt lgkmcnt(0)
	v_add_co_u32 v25, vcc_lo, v32, v29
	v_add_co_ci_u32_e32 v33, vcc_lo, v33, v30, vcc_lo
	s_delay_alu instid0(VALU_DEP_2) | instskip(NEXT) | instid1(VALU_DEP_2)
	v_add_co_u32 v32, vcc_lo, v25, v34
	v_add_co_ci_u32_e32 v33, vcc_lo, v33, v35, vcc_lo
	v_mov_b32_e32 v25, v26
	ds_store_b64 v0, v[32:33]
	ds_store_b64 v0, v[25:26]
.LBB4_57:                               ;   in Loop: Header=BB4_53 Depth=1
	s_or_b32 exec_lo, exec_lo, s11
	v_and_b32_e32 v25, 12, v38
	s_mov_b32 s12, -1
	s_mov_b32 s11, exec_lo
	s_delay_alu instid0(VALU_DEP_1)
	v_cmpx_ne_u32_e32 0, v25
	s_cbranch_execz .LBB4_71
; %bb.58:                               ;   in Loop: Header=BB4_53 Depth=1
	v_and_b32_e32 v25, 8, v38
	s_waitcnt lgkmcnt(0)
	s_delay_alu instid0(VALU_DEP_1) | instskip(SKIP_3) | instid1(VALU_DEP_1)
	v_add_co_u32 v34, vcc_lo, v20, v25
	v_add_co_ci_u32_e32 v35, vcc_lo, 0, v21, vcc_lo
	v_add_co_u32 v32, vcc_lo, v8, 1
	v_add_co_ci_u32_e32 v33, vcc_lo, 0, v9, vcc_lo
	v_cmp_lt_u64_e32 vcc_lo, v[34:35], v[32:33]
	v_mov_b32_e32 v34, 1
	s_and_saveexec_b32 s12, vcc_lo
	s_cbranch_execz .LBB4_70
; %bb.59:                               ;   in Loop: Header=BB4_53 Depth=1
	v_mov_b32_e32 v34, 0
	s_mov_b32 s23, 0
                                        ; implicit-def: $sgpr24
	s_branch .LBB4_63
.LBB4_60:                               ;   in Loop: Header=BB4_63 Depth=2
	s_or_b32 exec_lo, exec_lo, s28
	v_mov_b32_e32 v35, 0
	s_or_not1_b32 s27, s27, exec_lo
.LBB4_61:                               ;   in Loop: Header=BB4_63 Depth=2
	s_or_b32 exec_lo, exec_lo, s26
	s_delay_alu instid0(VALU_DEP_1) | instskip(SKIP_2) | instid1(SALU_CYCLE_1)
	v_mov_b32_e32 v34, v35
	s_and_not1_b32 s24, s24, exec_lo
	s_and_b32 s26, s27, exec_lo
	s_or_b32 s24, s24, s26
.LBB4_62:                               ;   in Loop: Header=BB4_63 Depth=2
	s_or_b32 exec_lo, exec_lo, s25
	s_waitcnt vmcnt(0) lgkmcnt(0)
	v_add_co_u32 v35, vcc_lo, v20, v25
	v_add_co_ci_u32_e32 v36, vcc_lo, 0, v21, vcc_lo
	s_xor_b32 s25, s24, -1
	s_delay_alu instid0(VALU_DEP_1) | instskip(SKIP_1) | instid1(SALU_CYCLE_1)
	v_cmp_ge_u64_e32 vcc_lo, v[35:36], v[32:33]
	s_or_b32 s25, s25, vcc_lo
	s_and_b32 s25, exec_lo, s25
	s_delay_alu instid0(SALU_CYCLE_1) | instskip(NEXT) | instid1(SALU_CYCLE_1)
	s_or_b32 s23, s25, s23
	s_and_not1_b32 exec_lo, exec_lo, s23
	s_cbranch_execz .LBB4_69
.LBB4_63:                               ;   Parent Loop BB4_53 Depth=1
                                        ; =>  This Inner Loop Header: Depth=2
	s_sleep 1
	flat_load_b64 v[20:21], v[16:17] glc
	v_and_b32_e32 v35, 64, v38
	s_and_not1_b32 s24, s24, exec_lo
	s_mov_b32 s25, exec_lo
	s_delay_alu instid0(VALU_DEP_1)
	v_cmpx_eq_u32_e32 0, v35
	s_cbranch_execz .LBB4_62
; %bb.64:                               ;   in Loop: Header=BB4_63 Depth=2
	v_add_nc_u32_e32 v35, 1, v34
	s_mov_b32 s27, -1
	s_mov_b32 s26, exec_lo
	v_cmpx_lt_i32_e32 0x270e, v34
	s_cbranch_execz .LBB4_61
; %bb.65:                               ;   in Loop: Header=BB4_63 Depth=2
	s_cbranch_execnz .LBB4_751
; %bb.66:                               ;   in Loop: Header=BB4_63 Depth=2
	ds_load_b64 v[34:35], v0
	s_mov_b32 s28, exec_lo
	s_waitcnt vmcnt(0) lgkmcnt(0)
	s_waitcnt_vscnt null, 0x0
	flat_load_b32 v34, v[34:35] glc
	s_waitcnt vmcnt(0) lgkmcnt(0)
	buffer_gl1_inv
	buffer_gl0_inv
	v_cmpx_ne_u32_e32 0, v34
	s_cbranch_execz .LBB4_60
; %bb.67:                               ;   in Loop: Header=BB4_63 Depth=2
	ds_store_b32 v0, v34
	s_cbranch_execnz .LBB4_784
; %bb.68:                               ;   in Loop: Header=BB4_63 Depth=2
	v_or_b32_e32 v38, 64, v38
	s_xor_b32 s27, exec_lo, -1
	s_branch .LBB4_60
.LBB4_69:                               ;   in Loop: Header=BB4_53 Depth=1
	s_or_b32 exec_lo, exec_lo, s23
	v_and_b32_e32 v34, 12, v38
.LBB4_70:                               ;   in Loop: Header=BB4_53 Depth=1
	s_or_b32 exec_lo, exec_lo, s12
	s_delay_alu instid0(VALU_DEP_1)
	v_cmp_eq_u32_e32 vcc_lo, 0, v34
	;;#ASMSTART
	s_wakeup
	;;#ASMEND
	s_or_not1_b32 s12, vcc_lo, exec_lo
.LBB4_71:                               ;   in Loop: Header=BB4_53 Depth=1
	s_or_b32 exec_lo, exec_lo, s11
	v_min_u32_e32 v80, v80, v24
	s_xor_b32 s11, s12, -1
	s_delay_alu instid0(SALU_CYCLE_1)
	s_and_saveexec_b32 s12, s11
	s_cbranch_execz .LBB4_86
; %bb.72:                               ;   in Loop: Header=BB4_53 Depth=1
	v_and_b32_e32 v25, 0x108, v38
	s_mov_b32 s11, exec_lo
	s_delay_alu instid0(VALU_DEP_1)
	v_cmpx_ne_u32_e32 0x108, v25
	s_xor_b32 s11, exec_lo, s11
                                        ; implicit-def: $vgpr32_vgpr33
	s_cbranch_execz .LBB4_74
; %bb.73:                               ;   in Loop: Header=BB4_53 Depth=1
	s_waitcnt lgkmcnt(0)
	v_and_b32_e32 v32, 7, v8
.LBB4_74:                               ;   in Loop: Header=BB4_53 Depth=1
	s_and_not1_saveexec_b32 s11, s11
	s_cbranch_execz .LBB4_76
; %bb.75:                               ;   in Loop: Header=BB4_53 Depth=1
	s_waitcnt lgkmcnt(0)
	v_and_b32_e32 v32, 7, v8
	v_dual_mov_b32 v36, v26 :: v_dual_lshlrev_b32 v35, 2, v80
	s_delay_alu instid0(VALU_DEP_2)
	v_mad_u64_u32 v[33:34], null, v32, 24, v[6:7]
	flat_store_b64 v[33:34], v[35:36] offset:8
.LBB4_76:                               ;   in Loop: Header=BB4_53 Depth=1
	s_or_b32 exec_lo, exec_lo, s11
	v_and_b32_e32 v25, 0x100, v38
	s_mov_b32 s11, -1
	s_mov_b32 s23, exec_lo
                                        ; implicit-def: $vgpr33_vgpr34
	s_delay_alu instid0(VALU_DEP_1)
	v_cmpx_ne_u32_e32 0, v25
	s_cbranch_execnz .LBB4_79
; %bb.77:                               ;   in Loop: Header=BB4_53 Depth=1
	s_or_b32 exec_lo, exec_lo, s23
	s_and_saveexec_b32 s23, s11
	s_cbranch_execnz .LBB4_82
.LBB4_78:                               ;   in Loop: Header=BB4_53 Depth=1
	s_or_b32 exec_lo, exec_lo, s23
	s_cbranch_execnz .LBB4_745
	s_branch .LBB4_83
.LBB4_79:                               ;   in Loop: Header=BB4_53 Depth=1
	v_mad_u64_u32 v[35:36], null, v32, 24, v[6:7]
	s_mov_b32 s24, exec_lo
	s_delay_alu instid0(VALU_DEP_1) | instskip(SKIP_1) | instid1(VALU_DEP_1)
	v_mov_b32_e32 v25, v36
	s_waitcnt lgkmcnt(0)
	v_mad_u64_u32 v[33:34], null, v26, 24, v[25:26]
	s_delay_alu instid0(VALU_DEP_1)
	v_mov_b32_e32 v36, v33
                                        ; implicit-def: $vgpr33_vgpr34
	flat_load_b32 v25, v[35:36]
	s_waitcnt vmcnt(0) lgkmcnt(0)
	v_cmp_ne_u32_e32 vcc_lo, 1, v25
	v_cmpx_eq_u32_e32 1, v25
	s_cbranch_execz .LBB4_81
; %bb.80:                               ;   in Loop: Header=BB4_53 Depth=1
	flat_load_b32 v33, v[35:36] offset:4 glc
	s_waitcnt vmcnt(0) lgkmcnt(0)
	v_ashrrev_i32_e32 v34, 31, v33
	s_delay_alu instid0(VALU_DEP_1)
	v_lshrrev_b64 v[33:34], 2, v[33:34]
.LBB4_81:                               ;   in Loop: Header=BB4_53 Depth=1
	s_or_b32 exec_lo, exec_lo, s24
	s_delay_alu instid0(SALU_CYCLE_1)
	s_or_not1_b32 s11, vcc_lo, exec_lo
	s_or_b32 exec_lo, exec_lo, s23
	s_and_saveexec_b32 s23, s11
	s_cbranch_execz .LBB4_78
.LBB4_82:                               ;   in Loop: Header=BB4_53 Depth=1
	v_mul_lo_u32 v25, v26, v48
	v_mul_lo_u32 v35, v32, v49
	s_waitcnt lgkmcnt(0)
	v_mad_u64_u32 v[33:34], null, v32, v48, 0
	s_delay_alu instid0(VALU_DEP_1)
	v_add3_u32 v34, v34, v35, v25
	s_or_b32 exec_lo, exec_lo, s23
	s_cbranch_execnz .LBB4_745
.LBB4_83:                               ;   in Loop: Header=BB4_53 Depth=1
	s_waitcnt lgkmcnt(0)
	s_delay_alu instid0(VALU_DEP_1) | instskip(SKIP_2) | instid1(VALU_DEP_2)
	v_lshlrev_b64 v[32:33], 2, v[33:34]
	v_and_b32_e32 v25, 0x2000, v38
	s_mov_b32 s11, exec_lo
	v_add_co_u32 v32, vcc_lo, v18, v32
	s_delay_alu instid0(VALU_DEP_3)
	v_add_co_ci_u32_e32 v33, vcc_lo, v19, v33, vcc_lo
	ds_store_b64 v0, v[32:33]
	v_cmpx_ne_u32_e32 0, v25
	s_cbranch_execz .LBB4_85
; %bb.84:                               ;   in Loop: Header=BB4_53 Depth=1
	ds_load_b64 v[32:33], v0 offset:584
	s_waitcnt lgkmcnt(0)
	v_add_co_u32 v32, vcc_lo, v32, 1
	v_add_co_ci_u32_e32 v33, vcc_lo, 0, v33, vcc_lo
	ds_store_b64 v0, v[32:33] offset:584
.LBB4_85:                               ;   in Loop: Header=BB4_53 Depth=1
	s_or_b32 exec_lo, exec_lo, s11
	v_add_co_u32 v8, vcc_lo, v8, 1
	v_add_co_ci_u32_e32 v9, vcc_lo, 0, v9, vcc_lo
.LBB4_86:                               ;   in Loop: Header=BB4_53 Depth=1
	s_or_b32 exec_lo, exec_lo, s12
	s_and_saveexec_b32 s11, s3
	s_cbranch_execz .LBB4_108
; %bb.87:                               ;   in Loop: Header=BB4_53 Depth=1
	s_and_saveexec_b32 s12, s4
	s_delay_alu instid0(SALU_CYCLE_1)
	s_xor_b32 s12, exec_lo, s12
	s_cbranch_execz .LBB4_105
; %bb.88:                               ;   in Loop: Header=BB4_53 Depth=1
	s_and_saveexec_b32 s23, s5
	s_cbranch_execz .LBB4_104
; %bb.89:                               ;   in Loop: Header=BB4_53 Depth=1
	s_mov_b32 s25, exec_lo
	s_mov_b32 s24, exec_lo
	v_mbcnt_lo_u32_b32 v25, s25, 0
	s_waitcnt lgkmcnt(0)
	s_waitcnt_vscnt null, 0x0
	buffer_gl1_inv
	buffer_gl0_inv
	v_cmpx_eq_u32_e32 0, v25
	s_cbranch_execz .LBB4_91
; %bb.90:                               ;   in Loop: Header=BB4_53 Depth=1
	s_bcnt1_i32_b32 s25, s25
	s_delay_alu instid0(SALU_CYCLE_1)
	v_mov_b32_e32 v25, s25
	ds_add_u64 v0, v[25:26]
	s_cbranch_execnz .LBB4_810
.LBB4_91:                               ;   in Loop: Header=BB4_53 Depth=1
	s_or_b32 exec_lo, exec_lo, s24
	s_cbranch_execnz .LBB4_798
; %bb.92:                               ;   in Loop: Header=BB4_53 Depth=1
	ds_load_b64 v[32:33], v0
	v_add_co_u32 v10, vcc_lo, v10, v50
	v_add_co_ci_u32_e32 v11, vcc_lo, 0, v11, vcc_lo
	s_mov_b32 s24, exec_lo
	s_waitcnt lgkmcnt(0)
	s_delay_alu instid0(VALU_DEP_1)
	v_cmpx_lt_u64_e64 v[32:33], v[10:11]
	s_cbranch_execz .LBB4_103
; %bb.93:                               ;   in Loop: Header=BB4_53 Depth=1
	s_mov_b32 s25, 0
	s_mov_b32 s28, 0
                                        ; implicit-def: $sgpr26
                                        ; implicit-def: $sgpr27
	s_branch .LBB4_95
.LBB4_94:                               ;   in Loop: Header=BB4_95 Depth=2
	s_or_b32 exec_lo, exec_lo, vcc_hi
	s_delay_alu instid0(SALU_CYCLE_1) | instskip(NEXT) | instid1(SALU_CYCLE_1)
	s_and_b32 s29, exec_lo, vcc_lo
	s_or_b32 s25, s29, s25
	s_and_not1_b32 s26, s26, exec_lo
	s_and_b32 s29, s27, exec_lo
	s_delay_alu instid0(SALU_CYCLE_1)
	s_or_b32 s26, s26, s29
	s_and_not1_b32 exec_lo, exec_lo, s25
	s_cbranch_execz .LBB4_101
.LBB4_95:                               ;   Parent Loop BB4_53 Depth=1
                                        ; =>  This Inner Loop Header: Depth=2
	s_add_i32 s28, s28, 1
                                        ; implicit-def: $vcc_hi
	s_delay_alu instid0(SALU_CYCLE_1) | instskip(SKIP_1) | instid1(SALU_CYCLE_1)
	s_cmpk_lg_i32 s28, 0x2710
	s_cselect_b32 s29, -1, 0
	s_and_b32 vcc_lo, exec_lo, s29
	s_cbranch_vccz .LBB4_99
.LBB4_96:                               ;   in Loop: Header=BB4_95 Depth=2
	s_and_not1_b32 s27, s27, exec_lo
	s_and_b32 vcc_hi, vcc_hi, exec_lo
	s_mov_b32 vcc_lo, -1
	s_or_b32 s27, s27, vcc_hi
	s_and_saveexec_b32 vcc_hi, s29
	s_cbranch_execz .LBB4_94
; %bb.97:                               ;   in Loop: Header=BB4_95 Depth=2
	s_sleep 1
	s_cbranch_execnz .LBB4_842
; %bb.98:                               ;   in Loop: Header=BB4_95 Depth=2
	ds_load_b64 v[32:33], v0
	s_and_not1_b32 s27, s27, exec_lo
	s_waitcnt lgkmcnt(0)
	v_cmp_ge_u64_e32 vcc_lo, v[32:33], v[10:11]
	s_or_not1_b32 vcc_lo, vcc_lo, exec_lo
	s_branch .LBB4_94
.LBB4_99:                               ;   in Loop: Header=BB4_95 Depth=2
	s_cbranch_execnz .LBB4_856
; %bb.100:                              ;   in Loop: Header=BB4_95 Depth=2
	ds_load_b64 v[32:33], v0
	s_and_not1_b32 s29, s29, exec_lo
	s_mov_b32 s28, 0
	s_waitcnt lgkmcnt(0)
	flat_load_b32 v25, v[32:33] glc
	s_waitcnt vmcnt(0) lgkmcnt(0)
	buffer_gl1_inv
	buffer_gl0_inv
	v_cmp_eq_u32_e32 vcc_lo, 0, v25
	s_mov_b32 vcc_hi, -1
	s_and_b32 vcc_lo, vcc_lo, exec_lo
	s_delay_alu instid0(SALU_CYCLE_1)
	s_or_b32 s29, s29, vcc_lo
	s_branch .LBB4_96
.LBB4_101:                              ;   in Loop: Header=BB4_53 Depth=1
	s_or_b32 exec_lo, exec_lo, s25
	s_and_saveexec_b32 s25, s26
	s_delay_alu instid0(SALU_CYCLE_1)
	s_xor_b32 s25, exec_lo, s25
	s_cbranch_execz .LBB4_103
; %bb.102:                              ;   in Loop: Header=BB4_53 Depth=1
	ds_store_b32 v0, v71
	s_cbranch_execnz .LBB4_928
.LBB4_103:                              ;   in Loop: Header=BB4_53 Depth=1
	s_or_b32 exec_lo, exec_lo, s24
	;;#ASMSTART
	s_wakeup
	;;#ASMEND
.LBB4_104:                              ;   in Loop: Header=BB4_53 Depth=1
	s_or_b32 exec_lo, exec_lo, s23
.LBB4_105:                              ;   in Loop: Header=BB4_53 Depth=1
	s_and_not1_saveexec_b32 s12, s12
	s_cbranch_execz .LBB4_107
; %bb.106:                              ;   in Loop: Header=BB4_53 Depth=1
	s_waitcnt lgkmcnt(0)
	s_waitcnt_vscnt null, 0x0
	buffer_gl1_inv
	buffer_gl0_inv
	s_barrier
.LBB4_107:                              ;   in Loop: Header=BB4_53 Depth=1
	s_or_b32 exec_lo, exec_lo, s12
.LBB4_108:                              ;   in Loop: Header=BB4_53 Depth=1
	s_delay_alu instid0(SALU_CYCLE_1)
	s_or_b32 exec_lo, exec_lo, s11
	s_cbranch_execnz .LBB4_735
; %bb.109:                              ;   in Loop: Header=BB4_53 Depth=1
	ds_load_b32 v32, v0
	v_and_b32_e32 v25, 0x4000, v38
	s_delay_alu instid0(VALU_DEP_1) | instskip(SKIP_1) | instid1(SALU_CYCLE_1)
	v_cmp_ne_u32_e32 vcc_lo, 0, v25
	s_and_b32 s12, s20, vcc_lo
	s_and_saveexec_b32 s11, s12
	s_cbranch_execz .LBB4_131
; %bb.110:                              ;   in Loop: Header=BB4_53 Depth=1
	s_and_saveexec_b32 s12, s4
	s_delay_alu instid0(SALU_CYCLE_1)
	s_xor_b32 s12, exec_lo, s12
	s_cbranch_execz .LBB4_128
; %bb.111:                              ;   in Loop: Header=BB4_53 Depth=1
	s_and_saveexec_b32 s23, s5
	s_cbranch_execz .LBB4_127
; %bb.112:                              ;   in Loop: Header=BB4_53 Depth=1
	s_mov_b32 s25, exec_lo
	s_mov_b32 s24, exec_lo
	v_mbcnt_lo_u32_b32 v25, s25, 0
	s_waitcnt lgkmcnt(0)
	s_waitcnt_vscnt null, 0x0
	buffer_gl1_inv
	buffer_gl0_inv
	v_cmpx_eq_u32_e32 0, v25
	s_cbranch_execz .LBB4_114
; %bb.113:                              ;   in Loop: Header=BB4_53 Depth=1
	s_bcnt1_i32_b32 s25, s25
	s_delay_alu instid0(SALU_CYCLE_1)
	v_mov_b32_e32 v25, s25
	ds_add_u64 v0, v[25:26]
	s_cbranch_execnz .LBB4_838
.LBB4_114:                              ;   in Loop: Header=BB4_53 Depth=1
	s_or_b32 exec_lo, exec_lo, s24
	s_cbranch_execnz .LBB4_826
; %bb.115:                              ;   in Loop: Header=BB4_53 Depth=1
	ds_load_b64 v[33:34], v0
	v_add_co_u32 v10, vcc_lo, v10, v50
	v_add_co_ci_u32_e32 v11, vcc_lo, 0, v11, vcc_lo
	s_mov_b32 s24, exec_lo
	s_waitcnt lgkmcnt(0)
	s_delay_alu instid0(VALU_DEP_1)
	v_cmpx_lt_u64_e64 v[33:34], v[10:11]
	s_cbranch_execz .LBB4_126
; %bb.116:                              ;   in Loop: Header=BB4_53 Depth=1
	s_mov_b32 s25, 0
	s_mov_b32 s28, 0
                                        ; implicit-def: $sgpr26
                                        ; implicit-def: $sgpr27
	s_branch .LBB4_118
.LBB4_117:                              ;   in Loop: Header=BB4_118 Depth=2
	s_or_b32 exec_lo, exec_lo, vcc_hi
	s_delay_alu instid0(SALU_CYCLE_1) | instskip(NEXT) | instid1(SALU_CYCLE_1)
	s_and_b32 s29, exec_lo, vcc_lo
	s_or_b32 s25, s29, s25
	s_and_not1_b32 s26, s26, exec_lo
	s_and_b32 s29, s27, exec_lo
	s_delay_alu instid0(SALU_CYCLE_1)
	s_or_b32 s26, s26, s29
	s_and_not1_b32 exec_lo, exec_lo, s25
	s_cbranch_execz .LBB4_124
.LBB4_118:                              ;   Parent Loop BB4_53 Depth=1
                                        ; =>  This Inner Loop Header: Depth=2
	s_add_i32 s28, s28, 1
                                        ; implicit-def: $vcc_hi
	s_delay_alu instid0(SALU_CYCLE_1) | instskip(SKIP_1) | instid1(SALU_CYCLE_1)
	s_cmpk_lg_i32 s28, 0x2710
	s_cselect_b32 s29, -1, 0
	s_and_b32 vcc_lo, exec_lo, s29
	s_cbranch_vccz .LBB4_122
.LBB4_119:                              ;   in Loop: Header=BB4_118 Depth=2
	s_and_not1_b32 s27, s27, exec_lo
	s_and_b32 vcc_hi, vcc_hi, exec_lo
	s_mov_b32 vcc_lo, -1
	s_or_b32 s27, s27, vcc_hi
	s_and_saveexec_b32 vcc_hi, s29
	s_cbranch_execz .LBB4_117
; %bb.120:                              ;   in Loop: Header=BB4_118 Depth=2
	s_sleep 1
	s_cbranch_execnz .LBB4_892
; %bb.121:                              ;   in Loop: Header=BB4_118 Depth=2
	ds_load_b64 v[33:34], v0
	s_and_not1_b32 s27, s27, exec_lo
	s_waitcnt lgkmcnt(0)
	v_cmp_ge_u64_e32 vcc_lo, v[33:34], v[10:11]
	s_or_not1_b32 vcc_lo, vcc_lo, exec_lo
	s_branch .LBB4_117
.LBB4_122:                              ;   in Loop: Header=BB4_118 Depth=2
	s_cbranch_execnz .LBB4_900
; %bb.123:                              ;   in Loop: Header=BB4_118 Depth=2
	ds_load_b64 v[33:34], v0
	s_and_not1_b32 s29, s29, exec_lo
	s_mov_b32 s28, 0
	s_waitcnt lgkmcnt(0)
	flat_load_b32 v25, v[33:34] glc
	s_waitcnt vmcnt(0) lgkmcnt(0)
	buffer_gl1_inv
	buffer_gl0_inv
	v_cmp_eq_u32_e32 vcc_lo, 0, v25
	s_mov_b32 vcc_hi, -1
	s_and_b32 vcc_lo, vcc_lo, exec_lo
	s_delay_alu instid0(SALU_CYCLE_1)
	s_or_b32 s29, s29, vcc_lo
	s_branch .LBB4_119
.LBB4_124:                              ;   in Loop: Header=BB4_53 Depth=1
	s_or_b32 exec_lo, exec_lo, s25
	s_and_saveexec_b32 s25, s26
	s_delay_alu instid0(SALU_CYCLE_1)
	s_xor_b32 s25, exec_lo, s25
	s_cbranch_execz .LBB4_126
; %bb.125:                              ;   in Loop: Header=BB4_53 Depth=1
	ds_store_b32 v0, v71
	s_cbranch_execnz .LBB4_938
.LBB4_126:                              ;   in Loop: Header=BB4_53 Depth=1
	s_or_b32 exec_lo, exec_lo, s24
	;;#ASMSTART
	s_wakeup
	;;#ASMEND
.LBB4_127:                              ;   in Loop: Header=BB4_53 Depth=1
	s_or_b32 exec_lo, exec_lo, s23
.LBB4_128:                              ;   in Loop: Header=BB4_53 Depth=1
	s_and_not1_saveexec_b32 s12, s12
	s_cbranch_execz .LBB4_130
; %bb.129:                              ;   in Loop: Header=BB4_53 Depth=1
	s_waitcnt lgkmcnt(0)
	s_waitcnt_vscnt null, 0x0
	buffer_gl1_inv
	buffer_gl0_inv
	s_barrier
.LBB4_130:                              ;   in Loop: Header=BB4_53 Depth=1
	s_or_b32 exec_lo, exec_lo, s12
.LBB4_131:                              ;   in Loop: Header=BB4_53 Depth=1
	s_delay_alu instid0(SALU_CYCLE_1)
	s_or_b32 exec_lo, exec_lo, s11
	s_cbranch_execnz .LBB4_770
; %bb.132:                              ;   in Loop: Header=BB4_53 Depth=1
	s_waitcnt lgkmcnt(1)
	ds_load_b64 v[33:34], v0
	s_waitcnt lgkmcnt(0)
	v_cmp_eq_u64_e32 vcc_lo, 0, v[33:34]
	s_or_b32 s11, vcc_lo, vcc_lo
	s_delay_alu instid0(SALU_CYCLE_1)
	s_and_b32 vcc_lo, exec_lo, s11
	s_mov_b32 s11, 0
	s_cbranch_vccnz .LBB4_166
; %bb.133:                              ;   in Loop: Header=BB4_53 Depth=1
	s_mov_b32 s11, -1
	s_and_saveexec_b32 s12, s6
	s_cbranch_execz .LBB4_135
; %bb.134:                              ;   in Loop: Header=BB4_53 Depth=1
	ds_load_b32 v25, v0 offset:720
	s_waitcnt lgkmcnt(0)
	v_and_b32_e32 v25, 15, v25
	s_delay_alu instid0(VALU_DEP_1)
	v_cmp_eq_u32_e32 vcc_lo, 0, v25
	s_or_not1_b32 s11, vcc_lo, exec_lo
.LBB4_135:                              ;   in Loop: Header=BB4_53 Depth=1
	s_or_b32 exec_lo, exec_lo, s12
	s_and_saveexec_b32 s12, s7
	s_cbranch_execz .LBB4_137
; %bb.136:                              ;   in Loop: Header=BB4_53 Depth=1
	ds_load_b32 v25, v0 offset:784
	s_waitcnt lgkmcnt(0)
	v_and_b32_e32 v25, 15, v25
	s_delay_alu instid0(VALU_DEP_1) | instskip(SKIP_3) | instid1(SALU_CYCLE_1)
	v_cmp_eq_u32_e32 vcc_lo, 0, v25
	s_and_b32 s23, s11, vcc_lo
	s_and_not1_b32 s11, s11, exec_lo
	s_and_b32 s23, s23, exec_lo
	s_or_b32 s11, s11, s23
.LBB4_137:                              ;   in Loop: Header=BB4_53 Depth=1
	s_or_b32 exec_lo, exec_lo, s12
	v_cmp_eq_u32_e32 vcc_lo, 0, v32
	s_xor_b32 s11, s11, -1
	v_mov_b32_e32 v82, 0
	v_cndmask_b32_e64 v33, 0, 1, s11
	;;#ASMSTART
	;;#ASMEND
	v_cndmask_b32_e32 v25, 0, v80, vcc_lo
	s_delay_alu instid0(VALU_DEP_2) | instskip(SKIP_1) | instid1(VALU_DEP_2)
	v_cmp_ne_u32_e32 vcc_lo, 0, v33
	s_mov_b32 s11, -1
	v_lshlrev_b32_e32 v81, 2, v25
	s_cbranch_vccz .LBB4_139
; %bb.138:                              ;   in Loop: Header=BB4_53 Depth=1
	v_dual_mov_b32 v83, v0 :: v_dual_mov_b32 v32, v51
	s_branch .LBB4_154
.LBB4_139:                              ;   in Loop: Header=BB4_53 Depth=1
	v_lshrrev_b32_e32 v82, 8, v25
	s_mov_b32 s12, exec_lo
	s_delay_alu instid0(VALU_DEP_1) | instskip(NEXT) | instid1(VALU_DEP_1)
	v_sub_nc_u32_e32 v85, v82, v51
	v_cmpx_lt_i32_e32 0, v85
	s_cbranch_execz .LBB4_144
; %bb.140:                              ;   in Loop: Header=BB4_53 Depth=1
	s_cbranch_execnz .LBB4_860
; %bb.141:                              ;   in Loop: Header=BB4_53 Depth=1
	ds_load_b128 v[32:35], v0
	ds_load_b64 v[36:37], v0
	s_mov_b32 s23, 0
	s_waitcnt lgkmcnt(1)
	v_add_co_u32 v32, vcc_lo, v32, v55
	v_add_co_ci_u32_e32 v33, vcc_lo, v33, v66, vcc_lo
	v_add_co_u32 v34, vcc_lo, v34, v55
	v_add_co_ci_u32_e32 v35, vcc_lo, v35, v66, vcc_lo
	s_waitcnt lgkmcnt(0)
	v_add_co_u32 v36, vcc_lo, v36, v55
	v_add_co_ci_u32_e32 v37, vcc_lo, v37, v66, vcc_lo
	s_set_inst_prefetch_distance 0x1
.LBB4_142:                              ;   Parent Loop BB4_53 Depth=1
                                        ; =>  This Inner Loop Header: Depth=2
	global_load_b128 v[96:99], v[34:35], off slc dlc
	s_clause 0x1
	global_load_b128 v[100:103], v[32:33], off slc dlc
	global_load_b128 v[112:115], v[32:33], off offset:512 slc dlc
	global_load_b128 v[116:119], v[34:35], off offset:512 slc dlc
	v_add_co_u32 v32, vcc_lo, v32, v64
	v_sub_nc_u32_e32 v85, v85, v50
	v_add_co_ci_u32_e32 v33, vcc_lo, v33, v65, vcc_lo
	v_add_co_u32 v34, vcc_lo, v34, v64
	v_add_co_ci_u32_e32 v35, vcc_lo, v35, v65, vcc_lo
	s_delay_alu instid0(VALU_DEP_4)
	v_cmp_gt_i32_e32 vcc_lo, 1, v85
	s_or_b32 s23, vcc_lo, s23
	s_waitcnt vmcnt(2)
	v_dual_mul_f32 v96, v100, v96 :: v_dual_mul_f32 v97, v101, v97
	v_dual_mul_f32 v98, v102, v98 :: v_dual_mul_f32 v99, v103, v99
	s_waitcnt vmcnt(0)
	v_dual_mul_f32 v100, v112, v116 :: v_dual_mul_f32 v101, v113, v117
	v_dual_mul_f32 v102, v114, v118 :: v_dual_mul_f32 v103, v115, v119
	s_clause 0x1
	global_store_b128 v[36:37], v[96:99], off glc slc dlc
	global_store_b128 v[36:37], v[100:103], off offset:512 glc slc dlc
	v_add_co_u32 v36, s11, v36, v64
	s_delay_alu instid0(VALU_DEP_1)
	v_add_co_ci_u32_e64 v37, s11, v37, v65, s11
	s_and_not1_b32 exec_lo, exec_lo, s23
	s_cbranch_execnz .LBB4_142
; %bb.143:                              ;   in Loop: Header=BB4_53 Depth=1
	s_set_inst_prefetch_distance 0x2
	s_or_b32 exec_lo, exec_lo, s23
.LBB4_144:                              ;   in Loop: Header=BB4_53 Depth=1
	s_delay_alu instid0(SALU_CYCLE_1) | instskip(SKIP_4) | instid1(VALU_DEP_2)
	s_or_b32 exec_lo, exec_lo, s12
	v_lshlrev_b32_e32 v84, 10, v82
	v_mov_b32_e32 v82, 0
	s_mov_b32 s11, 0
	s_mov_b32 s23, exec_lo
                                        ; implicit-def: $vgpr83
                                        ; implicit-def: $vgpr32
	v_cmpx_ne_u32_e64 v81, v84
	s_cbranch_execz .LBB4_153
; %bb.145:                              ;   in Loop: Header=BB4_53 Depth=1
	v_lshlrev_b32_e32 v32, 5, v85
	v_sub_nc_u32_e32 v34, v81, v84
	s_mov_b32 s24, exec_lo
	s_delay_alu instid0(VALU_DEP_2) | instskip(NEXT) | instid1(VALU_DEP_2)
	v_sub_nc_u32_e32 v32, v53, v32
	v_ashrrev_i32_e32 v35, 31, v34
	s_delay_alu instid0(VALU_DEP_2) | instskip(NEXT) | instid1(VALU_DEP_2)
	v_ashrrev_i32_e32 v33, 31, v32
	v_lshrrev_b32_e32 v35, 23, v35
	s_delay_alu instid0(VALU_DEP_2) | instskip(NEXT) | instid1(VALU_DEP_2)
	v_lshrrev_b32_e32 v33, 27, v33
	v_add_nc_u32_e32 v35, v34, v35
	s_delay_alu instid0(VALU_DEP_2) | instskip(NEXT) | instid1(VALU_DEP_2)
	v_add_nc_u32_e32 v33, v32, v33
	v_and_b32_e32 v85, 0xfffffe00, v35
	v_ashrrev_i32_e32 v35, 9, v35
	s_delay_alu instid0(VALU_DEP_3) | instskip(NEXT) | instid1(VALU_DEP_3)
	v_and_b32_e32 v36, 0xffffffe0, v33
	v_sub_nc_u32_e32 v87, v34, v85
	v_ashrrev_i32_e32 v33, 5, v33
	s_delay_alu instid0(VALU_DEP_3) | instskip(NEXT) | instid1(VALU_DEP_3)
	v_sub_nc_u32_e32 v86, v32, v36
	v_cmp_lt_i32_e32 vcc_lo, 15, v87
	s_delay_alu instid0(VALU_DEP_2) | instskip(SKIP_1) | instid1(VALU_DEP_2)
	v_lshlrev_b32_e32 v32, 4, v86
	v_add_co_ci_u32_e64 v35, s11, 0, v35, vcc_lo
	v_lshl_add_u32 v32, v33, 9, v32
	s_delay_alu instid0(VALU_DEP_2) | instskip(NEXT) | instid1(VALU_DEP_2)
	v_sub_nc_u32_e32 v96, v35, v33
	v_sub_nc_u32_e32 v82, v34, v32
	s_delay_alu instid0(VALU_DEP_1)
	v_cmpx_lt_i32_e32 15, v82
	s_cbranch_execz .LBB4_150
; %bb.146:                              ;   in Loop: Header=BB4_53 Depth=1
	s_cbranch_execnz .LBB4_910
; %bb.147:                              ;   in Loop: Header=BB4_53 Depth=1
	ds_load_b128 v[33:36], v0
	ds_load_b64 v[97:98], v0
	v_add_nc_u32_e32 v37, v32, v84
	s_mov_b32 s25, 0
	s_delay_alu instid0(VALU_DEP_1) | instskip(SKIP_2) | instid1(VALU_DEP_1)
	v_ashrrev_i32_e32 v83, 31, v37
	s_waitcnt lgkmcnt(1)
	v_add_co_u32 v32, s11, v33, v37
	v_add_co_ci_u32_e64 v33, s11, v34, v83, s11
	v_add_co_u32 v34, s11, v35, v37
	s_delay_alu instid0(VALU_DEP_1) | instskip(SKIP_2) | instid1(VALU_DEP_1)
	v_add_co_ci_u32_e64 v35, s11, v36, v83, s11
	s_waitcnt lgkmcnt(0)
	v_add_co_u32 v36, s11, v97, v37
	v_add_co_ci_u32_e64 v37, s11, v98, v83, s11
.LBB4_148:                              ;   Parent Loop BB4_53 Depth=1
                                        ; =>  This Inner Loop Header: Depth=2
	global_load_b128 v[97:100], v[32:33], off slc dlc
	global_load_b128 v[112:115], v[34:35], off slc dlc
	v_add_co_u32 v32, s11, v32, v67
	v_sub_nc_u32_e32 v82, v82, v52
	v_add_co_ci_u32_e64 v33, s11, v33, v68, s11
	v_add_co_u32 v34, s11, v34, v67
	s_delay_alu instid0(VALU_DEP_1) | instskip(NEXT) | instid1(VALU_DEP_4)
	v_add_co_ci_u32_e64 v35, s11, v35, v68, s11
	v_cmp_gt_i32_e64 s11, 16, v82
	v_sub_nc_u32_e32 v96, v96, v50
	s_delay_alu instid0(VALU_DEP_2)
	s_or_b32 s25, s11, s25
	s_waitcnt vmcnt(0)
	v_dual_mul_f32 v97, v97, v112 :: v_dual_mul_f32 v98, v98, v113
	v_dual_mul_f32 v99, v99, v114 :: v_dual_mul_f32 v100, v100, v115
	global_store_b128 v[36:37], v[97:100], off glc slc dlc
	v_add_co_u32 v36, s12, v36, v67
	s_delay_alu instid0(VALU_DEP_1)
	v_add_co_ci_u32_e64 v37, s12, v37, v68, s12
	s_and_not1_b32 exec_lo, exec_lo, s25
	s_cbranch_execnz .LBB4_148
; %bb.149:                              ;   in Loop: Header=BB4_53 Depth=1
	s_or_b32 exec_lo, exec_lo, s25
.LBB4_150:                              ;   in Loop: Header=BB4_53 Depth=1
	s_delay_alu instid0(SALU_CYCLE_1) | instskip(SKIP_3) | instid1(VALU_DEP_1)
	s_or_b32 exec_lo, exec_lo, s24
	v_dual_mov_b32 v82, 0 :: v_dual_and_b32 v33, 12, v81
	s_mov_b32 s12, 0
	s_mov_b32 s24, exec_lo
                                        ; implicit-def: $vgpr83
                                        ; implicit-def: $vgpr32
	v_cndmask_b32_e32 v81, v87, v33, vcc_lo
	s_delay_alu instid0(VALU_DEP_1)
	v_cmpx_ne_u32_e32 0, v81
; %bb.151:                              ;   in Loop: Header=BB4_53 Depth=1
	v_cmp_lt_i32_e64 s11, 0, v96
	v_sub_nc_u32_e32 v33, v87, v33
	s_mov_b32 s12, exec_lo
	s_delay_alu instid0(VALU_DEP_2) | instskip(NEXT) | instid1(VALU_DEP_1)
	v_cndmask_b32_e64 v32, 0, v50, s11
	v_sub_nc_u32_e32 v32, v32, v96
	s_delay_alu instid0(VALU_DEP_1) | instskip(NEXT) | instid1(VALU_DEP_1)
	v_lshl_add_u32 v83, v32, 5, v86
	v_ashrrev_i32_e32 v32, 31, v83
	s_delay_alu instid0(VALU_DEP_1) | instskip(NEXT) | instid1(VALU_DEP_1)
	v_lshrrev_b32_e32 v32, 27, v32
	v_dual_cndmask_b32 v33, 0, v33 :: v_dual_add_nc_u32 v32, v83, v32
	s_delay_alu instid0(VALU_DEP_1) | instskip(NEXT) | instid1(VALU_DEP_2)
	v_add3_u32 v82, v85, v84, v33
	v_ashrrev_i32_e32 v32, 5, v32
; %bb.152:                              ;   in Loop: Header=BB4_53 Depth=1
	s_or_b32 exec_lo, exec_lo, s24
	s_delay_alu instid0(SALU_CYCLE_1)
	s_and_b32 s11, s12, exec_lo
.LBB4_153:                              ;   in Loop: Header=BB4_53 Depth=1
	s_or_b32 exec_lo, exec_lo, s23
.LBB4_154:                              ;   in Loop: Header=BB4_53 Depth=1
	s_and_saveexec_b32 s12, s11
	s_cbranch_execz .LBB4_165
; %bb.155:                              ;   in Loop: Header=BB4_53 Depth=1
	v_ashrrev_i32_e32 v33, 31, v81
	s_mov_b32 s23, exec_lo
	s_delay_alu instid0(VALU_DEP_1) | instskip(NEXT) | instid1(VALU_DEP_1)
	v_lshrrev_b32_e32 v33, 23, v33
	v_add_nc_u32_e32 v33, v81, v33
	s_delay_alu instid0(VALU_DEP_1) | instskip(NEXT) | instid1(VALU_DEP_1)
	v_ashrrev_i32_e32 v85, 9, v33
	v_sub_nc_u32_e32 v84, v85, v32
	s_delay_alu instid0(VALU_DEP_1)
	v_cmpx_lt_i32_e32 0, v84
	s_cbranch_execz .LBB4_160
; %bb.156:                              ;   in Loop: Header=BB4_53 Depth=1
	s_cbranch_execnz .LBB4_850
; %bb.157:                              ;   in Loop: Header=BB4_53 Depth=1
	v_ashrrev_i32_e32 v33, 31, v83
	v_lshlrev_b32_e32 v32, 9, v32
	s_mov_b32 s24, 0
	ds_load_b64 v[86:87], v0
	v_lshrrev_b32_e32 v33, 27, v33
	s_delay_alu instid0(VALU_DEP_1) | instskip(NEXT) | instid1(VALU_DEP_1)
	v_add_nc_u32_e32 v33, v83, v33
	v_and_b32_e32 v37, 0x3fffffe0, v33
	ds_load_b128 v[33:36], v0
	v_sub_nc_u32_e32 v37, v83, v37
	s_delay_alu instid0(VALU_DEP_1) | instskip(NEXT) | instid1(VALU_DEP_1)
	v_lshlrev_b32_e32 v37, 2, v37
	v_add3_u32 v37, v37, v82, v32
	s_delay_alu instid0(VALU_DEP_1) | instskip(SKIP_2) | instid1(VALU_DEP_2)
	v_ashrrev_i32_e32 v96, 31, v37
	s_waitcnt lgkmcnt(0)
	v_add_co_u32 v32, vcc_lo, v33, v37
	v_add_co_ci_u32_e32 v33, vcc_lo, v34, v96, vcc_lo
	v_add_co_u32 v34, vcc_lo, v35, v37
	v_add_co_ci_u32_e32 v35, vcc_lo, v36, v96, vcc_lo
	;; [unrolled: 2-line block ×3, first 2 shown]
	s_set_inst_prefetch_distance 0x1
.LBB4_158:                              ;   Parent Loop BB4_53 Depth=1
                                        ; =>  This Inner Loop Header: Depth=2
	s_clause 0x3
	flat_load_b32 v86, v[32:33] slc dlc
	flat_load_b32 v87, v[32:33] offset:128 slc dlc
	flat_load_b32 v96, v[32:33] offset:256 slc dlc
	;; [unrolled: 1-line block ×3, first 2 shown]
	s_clause 0x3
	flat_load_b32 v98, v[34:35] slc dlc
	flat_load_b32 v99, v[34:35] offset:128 slc dlc
	flat_load_b32 v100, v[34:35] offset:256 slc dlc
	;; [unrolled: 1-line block ×3, first 2 shown]
	v_add_co_u32 v32, vcc_lo, v32, v67
	v_sub_nc_u32_e32 v84, v84, v50
	v_add_co_ci_u32_e32 v33, vcc_lo, v33, v68, vcc_lo
	v_add_co_u32 v34, vcc_lo, v34, v67
	v_add_co_ci_u32_e32 v35, vcc_lo, v35, v68, vcc_lo
	s_delay_alu instid0(VALU_DEP_4)
	v_cmp_gt_i32_e32 vcc_lo, 1, v84
	s_or_b32 s24, vcc_lo, s24
	s_waitcnt vmcnt(2) lgkmcnt(2)
	v_dual_mul_f32 v86, v86, v98 :: v_dual_mul_f32 v87, v87, v99
	s_waitcnt vmcnt(0) lgkmcnt(0)
	v_dual_mul_f32 v96, v96, v100 :: v_dual_mul_f32 v97, v97, v101
	s_clause 0x3
	flat_store_b32 v[36:37], v86 glc slc dlc
	flat_store_b32 v[36:37], v87 offset:128 glc slc dlc
	flat_store_b32 v[36:37], v96 offset:256 glc slc dlc
	;; [unrolled: 1-line block ×3, first 2 shown]
	v_add_co_u32 v36, s11, v36, v67
	s_delay_alu instid0(VALU_DEP_1)
	v_add_co_ci_u32_e64 v37, s11, v37, v68, s11
	s_and_not1_b32 exec_lo, exec_lo, s24
	s_cbranch_execnz .LBB4_158
; %bb.159:                              ;   in Loop: Header=BB4_53 Depth=1
	s_set_inst_prefetch_distance 0x2
	s_or_b32 exec_lo, exec_lo, s24
.LBB4_160:                              ;   in Loop: Header=BB4_53 Depth=1
	s_delay_alu instid0(SALU_CYCLE_1) | instskip(SKIP_1) | instid1(VALU_DEP_1)
	s_or_b32 exec_lo, exec_lo, s23
	v_lshlrev_b32_e32 v32, 9, v85
	v_cmp_ne_u32_e32 vcc_lo, v81, v32
	s_and_b32 exec_lo, exec_lo, vcc_lo
	s_cbranch_execz .LBB4_165
; %bb.161:                              ;   in Loop: Header=BB4_53 Depth=1
	v_ashrrev_i32_e32 v33, 31, v83
	v_lshlrev_b32_e32 v34, 5, v84
	s_delay_alu instid0(VALU_DEP_2) | instskip(NEXT) | instid1(VALU_DEP_1)
	v_lshrrev_b32_e32 v33, 27, v33
	v_add_nc_u32_e32 v33, v83, v33
	s_delay_alu instid0(VALU_DEP_1) | instskip(NEXT) | instid1(VALU_DEP_1)
	v_and_b32_e32 v33, 0xffffffe0, v33
	v_sub_nc_u32_e32 v33, v83, v33
	s_delay_alu instid0(VALU_DEP_1) | instskip(NEXT) | instid1(VALU_DEP_1)
	v_sub_nc_u32_e32 v33, v33, v34
	v_ashrrev_i32_e32 v34, 31, v33
	s_delay_alu instid0(VALU_DEP_1) | instskip(NEXT) | instid1(VALU_DEP_1)
	v_lshrrev_b32_e32 v34, 27, v34
	v_add_nc_u32_e32 v34, v33, v34
	s_delay_alu instid0(VALU_DEP_1) | instskip(SKIP_1) | instid1(VALU_DEP_2)
	v_and_b32_e32 v35, 0x3fffffe0, v34
	v_lshlrev_b32_e32 v34, 2, v34
	v_sub_nc_u32_e32 v33, v33, v35
	s_delay_alu instid0(VALU_DEP_2) | instskip(NEXT) | instid1(VALU_DEP_2)
	v_and_b32_e32 v34, 0xffffff80, v34
	v_lshlrev_b32_e32 v33, 2, v33
	s_delay_alu instid0(VALU_DEP_1) | instskip(NEXT) | instid1(VALU_DEP_1)
	v_add3_u32 v32, v34, v33, v32
	v_sub_nc_u32_e32 v81, v81, v32
	s_delay_alu instid0(VALU_DEP_1)
	v_cmp_lt_i32_e32 vcc_lo, 3, v81
	s_and_b32 exec_lo, exec_lo, vcc_lo
	s_cbranch_execz .LBB4_165
; %bb.162:                              ;   in Loop: Header=BB4_53 Depth=1
	s_cbranch_execnz .LBB4_904
; %bb.163:                              ;   in Loop: Header=BB4_53 Depth=1
	ds_load_b128 v[33:36], v0
	ds_load_b64 v[83:84], v0
	v_add_nc_u32_e32 v37, v32, v82
	s_mov_b32 s23, 0
	s_delay_alu instid0(VALU_DEP_1) | instskip(SKIP_2) | instid1(VALU_DEP_2)
	v_ashrrev_i32_e32 v82, 31, v37
	s_waitcnt lgkmcnt(1)
	v_add_co_u32 v32, vcc_lo, v33, v37
	v_add_co_ci_u32_e32 v33, vcc_lo, v34, v82, vcc_lo
	v_add_co_u32 v34, vcc_lo, v35, v37
	v_add_co_ci_u32_e32 v35, vcc_lo, v36, v82, vcc_lo
	s_waitcnt lgkmcnt(0)
	v_add_co_u32 v36, vcc_lo, v83, v37
	v_add_co_ci_u32_e32 v37, vcc_lo, v84, v82, vcc_lo
.LBB4_164:                              ;   Parent Loop BB4_53 Depth=1
                                        ; =>  This Inner Loop Header: Depth=2
	flat_load_b32 v82, v[32:33] slc dlc
	flat_load_b32 v83, v[34:35] slc dlc
	v_add_co_u32 v32, vcc_lo, v32, v69
	v_sub_nc_u32_e32 v81, v81, v54
	v_add_co_ci_u32_e32 v33, vcc_lo, v33, v70, vcc_lo
	v_add_co_u32 v34, vcc_lo, v34, v69
	v_add_co_ci_u32_e32 v35, vcc_lo, v35, v70, vcc_lo
	s_delay_alu instid0(VALU_DEP_4)
	v_cmp_gt_i32_e32 vcc_lo, 4, v81
	s_or_b32 s23, vcc_lo, s23
	s_waitcnt vmcnt(0) lgkmcnt(0)
	v_mul_f32_e32 v82, v82, v83
	flat_store_b32 v[36:37], v82 glc slc dlc
	v_add_co_u32 v36, s11, v36, v69
	s_delay_alu instid0(VALU_DEP_1)
	v_add_co_ci_u32_e64 v37, s11, v37, v70, s11
	s_and_not1_b32 exec_lo, exec_lo, s23
	s_cbranch_execnz .LBB4_164
.LBB4_165:                              ;   in Loop: Header=BB4_53 Depth=1
	s_or_b32 exec_lo, exec_lo, s12
	v_cmp_ne_u32_e64 s11, 0, v25
.LBB4_166:                              ;   in Loop: Header=BB4_53 Depth=1
	s_and_saveexec_b32 s12, s3
	s_cbranch_execz .LBB4_188
; %bb.167:                              ;   in Loop: Header=BB4_53 Depth=1
	s_and_saveexec_b32 s23, s4
	s_delay_alu instid0(SALU_CYCLE_1)
	s_xor_b32 s23, exec_lo, s23
	s_cbranch_execz .LBB4_185
; %bb.168:                              ;   in Loop: Header=BB4_53 Depth=1
	s_and_saveexec_b32 s24, s5
	s_cbranch_execz .LBB4_184
; %bb.169:                              ;   in Loop: Header=BB4_53 Depth=1
	s_mov_b32 s26, exec_lo
	s_mov_b32 s25, exec_lo
	v_mbcnt_lo_u32_b32 v25, s26, 0
	s_waitcnt lgkmcnt(0)
	s_waitcnt_vscnt null, 0x0
	buffer_gl1_inv
	buffer_gl0_inv
	v_cmpx_eq_u32_e32 0, v25
	s_cbranch_execz .LBB4_171
; %bb.170:                              ;   in Loop: Header=BB4_53 Depth=1
	s_bcnt1_i32_b32 s26, s26
	s_delay_alu instid0(SALU_CYCLE_1)
	v_mov_b32_e32 v25, s26
	ds_add_u64 v0, v[25:26]
	s_cbranch_execnz .LBB4_894
.LBB4_171:                              ;   in Loop: Header=BB4_53 Depth=1
	s_or_b32 exec_lo, exec_lo, s25
	s_cbranch_execnz .LBB4_870
; %bb.172:                              ;   in Loop: Header=BB4_53 Depth=1
	ds_load_b64 v[32:33], v0
	v_add_co_u32 v10, vcc_lo, v10, v50
	v_add_co_ci_u32_e32 v11, vcc_lo, 0, v11, vcc_lo
	s_mov_b32 s25, exec_lo
	s_waitcnt lgkmcnt(0)
	s_delay_alu instid0(VALU_DEP_1)
	v_cmpx_lt_u64_e64 v[32:33], v[10:11]
	s_cbranch_execz .LBB4_183
; %bb.173:                              ;   in Loop: Header=BB4_53 Depth=1
	s_mov_b32 s26, 0
	s_mov_b32 s29, 0
                                        ; implicit-def: $sgpr27
                                        ; implicit-def: $sgpr28
	s_branch .LBB4_175
.LBB4_174:                              ;   in Loop: Header=BB4_175 Depth=2
	s_or_b32 exec_lo, exec_lo, s30
	s_delay_alu instid0(SALU_CYCLE_1) | instskip(NEXT) | instid1(SALU_CYCLE_1)
	s_and_b32 vcc_lo, exec_lo, vcc_lo
	s_or_b32 s26, vcc_lo, s26
	s_and_not1_b32 s27, s27, exec_lo
	s_and_b32 vcc_lo, s28, exec_lo
	s_delay_alu instid0(SALU_CYCLE_1)
	s_or_b32 s27, s27, vcc_lo
	s_and_not1_b32 exec_lo, exec_lo, s26
	s_cbranch_execz .LBB4_181
.LBB4_175:                              ;   Parent Loop BB4_53 Depth=1
                                        ; =>  This Inner Loop Header: Depth=2
	s_add_i32 s29, s29, 1
                                        ; implicit-def: $sgpr30
	s_delay_alu instid0(SALU_CYCLE_1) | instskip(SKIP_1) | instid1(SALU_CYCLE_1)
	s_cmpk_lg_i32 s29, 0x2710
	s_cselect_b32 vcc_hi, -1, 0
	s_and_b32 vcc_lo, exec_lo, vcc_hi
	s_cbranch_vccz .LBB4_179
.LBB4_176:                              ;   in Loop: Header=BB4_175 Depth=2
	s_and_not1_b32 s28, s28, exec_lo
	s_and_b32 s30, s30, exec_lo
	s_mov_b32 vcc_lo, -1
	s_or_b32 s28, s28, s30
	s_and_saveexec_b32 s30, vcc_hi
	s_cbranch_execz .LBB4_174
; %bb.177:                              ;   in Loop: Header=BB4_175 Depth=2
	s_sleep 1
	s_cbranch_execnz .LBB4_914
; %bb.178:                              ;   in Loop: Header=BB4_175 Depth=2
	ds_load_b64 v[32:33], v0
	s_and_not1_b32 s28, s28, exec_lo
	s_waitcnt lgkmcnt(0)
	v_cmp_ge_u64_e32 vcc_lo, v[32:33], v[10:11]
	s_or_not1_b32 vcc_lo, vcc_lo, exec_lo
	s_branch .LBB4_174
.LBB4_179:                              ;   in Loop: Header=BB4_175 Depth=2
	s_cbranch_execnz .LBB4_920
; %bb.180:                              ;   in Loop: Header=BB4_175 Depth=2
	ds_load_b64 v[32:33], v0
	s_mov_b32 s29, 0
	s_mov_b32 s30, -1
	s_waitcnt lgkmcnt(0)
	flat_load_b32 v25, v[32:33] glc
	s_waitcnt vmcnt(0) lgkmcnt(0)
	buffer_gl1_inv
	buffer_gl0_inv
	v_cmp_eq_u32_e32 vcc_lo, 0, v25
	s_and_not1_b32 vcc_hi, vcc_hi, exec_lo
	s_and_b32 vcc_lo, vcc_lo, exec_lo
	s_delay_alu instid0(SALU_CYCLE_1)
	s_or_b32 vcc_hi, vcc_hi, vcc_lo
	s_branch .LBB4_176
.LBB4_181:                              ;   in Loop: Header=BB4_53 Depth=1
	s_or_b32 exec_lo, exec_lo, s26
	s_and_saveexec_b32 s26, s27
	s_delay_alu instid0(SALU_CYCLE_1)
	s_xor_b32 s26, exec_lo, s26
	s_cbranch_execz .LBB4_183
; %bb.182:                              ;   in Loop: Header=BB4_53 Depth=1
	ds_store_b32 v0, v71
	s_cbranch_execnz .LBB4_944
.LBB4_183:                              ;   in Loop: Header=BB4_53 Depth=1
	s_or_b32 exec_lo, exec_lo, s25
	;;#ASMSTART
	s_wakeup
	;;#ASMEND
.LBB4_184:                              ;   in Loop: Header=BB4_53 Depth=1
	s_or_b32 exec_lo, exec_lo, s24
.LBB4_185:                              ;   in Loop: Header=BB4_53 Depth=1
	s_and_not1_saveexec_b32 s23, s23
	s_cbranch_execz .LBB4_187
; %bb.186:                              ;   in Loop: Header=BB4_53 Depth=1
	s_waitcnt lgkmcnt(0)
	s_waitcnt_vscnt null, 0x0
	buffer_gl1_inv
	buffer_gl0_inv
	s_barrier
.LBB4_187:                              ;   in Loop: Header=BB4_53 Depth=1
	s_or_b32 exec_lo, exec_lo, s23
.LBB4_188:                              ;   in Loop: Header=BB4_53 Depth=1
	s_delay_alu instid0(SALU_CYCLE_1) | instskip(SKIP_1) | instid1(VALU_DEP_1)
	s_or_b32 exec_lo, exec_lo, s12
	v_and_b32_e32 v25, 16, v38
	v_cmp_ne_u32_e32 vcc_lo, 0, v25
	s_and_b32 s12, vcc_lo, s11
	s_delay_alu instid0(SALU_CYCLE_1)
	s_and_saveexec_b32 s11, s12
	s_cbranch_execz .LBB4_190
; %bb.189:                              ;   in Loop: Header=BB4_53 Depth=1
	s_waitcnt lgkmcnt(0)
	s_waitcnt_vscnt null, 0x0
	buffer_gl1_inv
	buffer_gl0_inv
.LBB4_190:                              ;   in Loop: Header=BB4_53 Depth=1
	s_or_b32 exec_lo, exec_lo, s11
	v_cmp_ne_u32_e32 vcc_lo, 0, v25
	s_xor_b32 s11, s10, -1
	s_delay_alu instid0(SALU_CYCLE_1) | instskip(NEXT) | instid1(SALU_CYCLE_1)
	s_and_b32 s12, vcc_lo, s11
	s_and_saveexec_b32 s11, s12
	s_cbranch_execz .LBB4_192
; %bb.191:                              ;   in Loop: Header=BB4_53 Depth=1
	s_waitcnt lgkmcnt(0)
	s_waitcnt_vscnt null, 0x0
	flat_store_b32 v[22:23], v71
.LBB4_192:                              ;   in Loop: Header=BB4_53 Depth=1
	s_or_b32 exec_lo, exec_lo, s11
	v_and_b32_e32 v25, 48, v38
	s_mov_b32 s11, exec_lo
	s_delay_alu instid0(VALU_DEP_1)
	v_cmpx_ne_u32_e32 0, v25
	s_cbranch_execz .LBB4_194
; %bb.193:                              ;   in Loop: Header=BB4_53 Depth=1
	v_add_co_u32 v8, vcc_lo, v8, 1
	v_add_co_ci_u32_e32 v9, vcc_lo, 0, v9, vcc_lo
	s_waitcnt lgkmcnt(0)
	s_waitcnt_vscnt null, 0x0
	flat_store_b64 v[16:17], v[8:9]
.LBB4_194:                              ;   in Loop: Header=BB4_53 Depth=1
	s_or_b32 exec_lo, exec_lo, s11
	v_mov_b32_e32 v25, v80
.LBB4_195:                              ;   in Loop: Header=BB4_53 Depth=1
	s_or_b32 exec_lo, exec_lo, s22
	s_and_saveexec_b32 s12, s21
	s_cbranch_execz .LBB4_255
; %bb.196:                              ;   in Loop: Header=BB4_53 Depth=1
	v_and_b32_e32 v32, 12, v38
	s_mov_b32 s21, -1
	s_mov_b32 s11, exec_lo
	s_delay_alu instid0(VALU_DEP_1)
	v_cmpx_ne_u32_e32 0, v32
	s_cbranch_execz .LBB4_210
; %bb.197:                              ;   in Loop: Header=BB4_53 Depth=1
	s_waitcnt lgkmcnt(0)
	v_and_b32_e32 v34, 8, v38
	s_delay_alu instid0(VALU_DEP_1) | instskip(SKIP_3) | instid1(VALU_DEP_1)
	v_add_co_u32 v35, vcc_lo, v20, v34
	v_add_co_ci_u32_e32 v36, vcc_lo, 0, v21, vcc_lo
	v_add_co_u32 v32, vcc_lo, v8, 1
	v_add_co_ci_u32_e32 v33, vcc_lo, 0, v9, vcc_lo
	v_cmp_lt_u64_e32 vcc_lo, v[35:36], v[32:33]
	v_mov_b32_e32 v35, 1
	s_and_saveexec_b32 s21, vcc_lo
	s_cbranch_execz .LBB4_209
; %bb.198:                              ;   in Loop: Header=BB4_53 Depth=1
	v_mov_b32_e32 v35, 0
	s_mov_b32 s22, 0
                                        ; implicit-def: $sgpr23
	s_branch .LBB4_202
.LBB4_199:                              ;   in Loop: Header=BB4_202 Depth=2
	s_or_b32 exec_lo, exec_lo, s27
	v_mov_b32_e32 v36, 0
	s_or_not1_b32 s26, s26, exec_lo
.LBB4_200:                              ;   in Loop: Header=BB4_202 Depth=2
	s_or_b32 exec_lo, exec_lo, s25
	s_delay_alu instid0(VALU_DEP_1) | instskip(SKIP_2) | instid1(SALU_CYCLE_1)
	v_mov_b32_e32 v35, v36
	s_and_not1_b32 s23, s23, exec_lo
	s_and_b32 s25, s26, exec_lo
	s_or_b32 s23, s23, s25
.LBB4_201:                              ;   in Loop: Header=BB4_202 Depth=2
	s_or_b32 exec_lo, exec_lo, s24
	s_waitcnt vmcnt(0) lgkmcnt(0)
	v_add_co_u32 v36, vcc_lo, v20, v34
	v_add_co_ci_u32_e32 v37, vcc_lo, 0, v21, vcc_lo
	s_xor_b32 s24, s23, -1
	s_delay_alu instid0(VALU_DEP_1) | instskip(SKIP_1) | instid1(SALU_CYCLE_1)
	v_cmp_ge_u64_e32 vcc_lo, v[36:37], v[32:33]
	s_or_b32 s24, s24, vcc_lo
	s_and_b32 s24, exec_lo, s24
	s_delay_alu instid0(SALU_CYCLE_1) | instskip(NEXT) | instid1(SALU_CYCLE_1)
	s_or_b32 s22, s24, s22
	s_and_not1_b32 exec_lo, exec_lo, s22
	s_cbranch_execz .LBB4_208
.LBB4_202:                              ;   Parent Loop BB4_53 Depth=1
                                        ; =>  This Inner Loop Header: Depth=2
	s_sleep 1
	flat_load_b64 v[20:21], v[16:17] glc
	v_and_b32_e32 v36, 64, v38
	s_and_not1_b32 s23, s23, exec_lo
	s_mov_b32 s24, exec_lo
	s_delay_alu instid0(VALU_DEP_1)
	v_cmpx_eq_u32_e32 0, v36
	s_cbranch_execz .LBB4_201
; %bb.203:                              ;   in Loop: Header=BB4_202 Depth=2
	v_add_nc_u32_e32 v36, 1, v35
	s_mov_b32 s26, -1
	s_mov_b32 s25, exec_lo
	v_cmpx_lt_i32_e32 0x270e, v35
	s_cbranch_execz .LBB4_200
; %bb.204:                              ;   in Loop: Header=BB4_202 Depth=2
	s_cbranch_execnz .LBB4_768
; %bb.205:                              ;   in Loop: Header=BB4_202 Depth=2
	ds_load_b64 v[35:36], v0
	s_mov_b32 s27, exec_lo
	s_waitcnt vmcnt(0) lgkmcnt(0)
	s_waitcnt_vscnt null, 0x0
	flat_load_b32 v35, v[35:36] glc
	s_waitcnt vmcnt(0) lgkmcnt(0)
	buffer_gl1_inv
	buffer_gl0_inv
	v_cmpx_ne_u32_e32 0, v35
	s_cbranch_execz .LBB4_199
; %bb.206:                              ;   in Loop: Header=BB4_202 Depth=2
	ds_store_b32 v0, v35
	s_cbranch_execnz .LBB4_792
; %bb.207:                              ;   in Loop: Header=BB4_202 Depth=2
	v_or_b32_e32 v38, 64, v38
	s_xor_b32 s26, exec_lo, -1
	s_branch .LBB4_199
.LBB4_208:                              ;   in Loop: Header=BB4_53 Depth=1
	s_or_b32 exec_lo, exec_lo, s22
	v_and_b32_e32 v35, 12, v38
.LBB4_209:                              ;   in Loop: Header=BB4_53 Depth=1
	s_or_b32 exec_lo, exec_lo, s21
	s_delay_alu instid0(VALU_DEP_1)
	v_cmp_eq_u32_e32 vcc_lo, 0, v35
	;;#ASMSTART
	s_wakeup
	;;#ASMEND
	s_or_not1_b32 s21, vcc_lo, exec_lo
.LBB4_210:                              ;   in Loop: Header=BB4_53 Depth=1
	s_or_b32 exec_lo, exec_lo, s11
	v_sub_nc_u32_e32 v24, v24, v25
	s_xor_b32 s11, s21, -1
	s_delay_alu instid0(VALU_DEP_1)
	v_min_i32_e32 v24, v80, v24
	s_and_saveexec_b32 s21, s11
	s_cbranch_execz .LBB4_225
; %bb.211:                              ;   in Loop: Header=BB4_53 Depth=1
	v_and_b32_e32 v25, 0x108, v38
	s_mov_b32 s11, exec_lo
	s_delay_alu instid0(VALU_DEP_1)
	v_cmpx_ne_u32_e32 0x108, v25
	s_xor_b32 s11, exec_lo, s11
                                        ; implicit-def: $vgpr32_vgpr33
	s_cbranch_execz .LBB4_213
; %bb.212:                              ;   in Loop: Header=BB4_53 Depth=1
	s_waitcnt lgkmcnt(0)
	v_and_b32_e32 v32, 7, v8
.LBB4_213:                              ;   in Loop: Header=BB4_53 Depth=1
	s_and_not1_saveexec_b32 s11, s11
	s_cbranch_execz .LBB4_215
; %bb.214:                              ;   in Loop: Header=BB4_53 Depth=1
	s_waitcnt lgkmcnt(0)
	v_and_b32_e32 v32, 7, v8
	v_ashrrev_i32_e32 v25, 31, v24
	s_delay_alu instid0(VALU_DEP_2) | instskip(NEXT) | instid1(VALU_DEP_2)
	v_mad_u64_u32 v[33:34], null, v32, 24, v[6:7]
	v_lshlrev_b64 v[35:36], 2, v[24:25]
	flat_store_b64 v[33:34], v[35:36] offset:8
.LBB4_215:                              ;   in Loop: Header=BB4_53 Depth=1
	s_or_b32 exec_lo, exec_lo, s11
	v_and_b32_e32 v25, 0x100, v38
	s_mov_b32 s11, -1
	s_mov_b32 s22, exec_lo
                                        ; implicit-def: $vgpr33_vgpr34
	s_delay_alu instid0(VALU_DEP_1)
	v_cmpx_ne_u32_e32 0, v25
	s_cbranch_execnz .LBB4_218
; %bb.216:                              ;   in Loop: Header=BB4_53 Depth=1
	s_or_b32 exec_lo, exec_lo, s22
	s_and_saveexec_b32 s22, s11
	s_cbranch_execnz .LBB4_221
.LBB4_217:                              ;   in Loop: Header=BB4_53 Depth=1
	s_or_b32 exec_lo, exec_lo, s22
	s_cbranch_execnz .LBB4_760
	s_branch .LBB4_222
.LBB4_218:                              ;   in Loop: Header=BB4_53 Depth=1
	v_mad_u64_u32 v[35:36], null, v32, 24, v[6:7]
	s_mov_b32 s23, exec_lo
	s_delay_alu instid0(VALU_DEP_1) | instskip(SKIP_1) | instid1(VALU_DEP_1)
	v_mov_b32_e32 v25, v36
	s_waitcnt lgkmcnt(0)
	v_mad_u64_u32 v[33:34], null, v26, 24, v[25:26]
	s_delay_alu instid0(VALU_DEP_1)
	v_mov_b32_e32 v36, v33
                                        ; implicit-def: $vgpr33_vgpr34
	flat_load_b32 v25, v[35:36]
	s_waitcnt vmcnt(0) lgkmcnt(0)
	v_cmp_ne_u32_e32 vcc_lo, 1, v25
	v_cmpx_eq_u32_e32 1, v25
	s_cbranch_execz .LBB4_220
; %bb.219:                              ;   in Loop: Header=BB4_53 Depth=1
	flat_load_b32 v33, v[35:36] offset:4 glc
	s_waitcnt vmcnt(0) lgkmcnt(0)
	v_ashrrev_i32_e32 v34, 31, v33
	s_delay_alu instid0(VALU_DEP_1)
	v_lshrrev_b64 v[33:34], 2, v[33:34]
.LBB4_220:                              ;   in Loop: Header=BB4_53 Depth=1
	s_or_b32 exec_lo, exec_lo, s23
	s_delay_alu instid0(SALU_CYCLE_1)
	s_or_not1_b32 s11, vcc_lo, exec_lo
	s_or_b32 exec_lo, exec_lo, s22
	s_and_saveexec_b32 s22, s11
	s_cbranch_execz .LBB4_217
.LBB4_221:                              ;   in Loop: Header=BB4_53 Depth=1
	v_mul_lo_u32 v25, v26, v48
	v_mul_lo_u32 v35, v32, v49
	s_waitcnt lgkmcnt(0)
	v_mad_u64_u32 v[33:34], null, v32, v48, 0
	s_delay_alu instid0(VALU_DEP_1)
	v_add3_u32 v34, v34, v35, v25
	s_or_b32 exec_lo, exec_lo, s22
	s_cbranch_execnz .LBB4_760
.LBB4_222:                              ;   in Loop: Header=BB4_53 Depth=1
	s_waitcnt lgkmcnt(0)
	s_delay_alu instid0(VALU_DEP_1) | instskip(SKIP_2) | instid1(VALU_DEP_2)
	v_lshlrev_b64 v[32:33], 2, v[33:34]
	v_and_b32_e32 v25, 0x2000, v38
	s_mov_b32 s11, exec_lo
	v_add_co_u32 v32, vcc_lo, v18, v32
	s_delay_alu instid0(VALU_DEP_3)
	v_add_co_ci_u32_e32 v33, vcc_lo, v19, v33, vcc_lo
	ds_store_b64 v0, v[32:33]
	v_cmpx_ne_u32_e32 0, v25
	s_cbranch_execz .LBB4_224
; %bb.223:                              ;   in Loop: Header=BB4_53 Depth=1
	ds_load_b64 v[32:33], v0 offset:584
	s_waitcnt lgkmcnt(0)
	v_add_co_u32 v32, vcc_lo, v32, 1
	v_add_co_ci_u32_e32 v33, vcc_lo, 0, v33, vcc_lo
	ds_store_b64 v0, v[32:33] offset:584
.LBB4_224:                              ;   in Loop: Header=BB4_53 Depth=1
	s_or_b32 exec_lo, exec_lo, s11
	v_add_co_u32 v8, vcc_lo, v8, 1
	v_add_co_ci_u32_e32 v9, vcc_lo, 0, v9, vcc_lo
.LBB4_225:                              ;   in Loop: Header=BB4_53 Depth=1
	s_or_b32 exec_lo, exec_lo, s21
	s_and_saveexec_b32 s11, s3
	s_cbranch_execz .LBB4_247
; %bb.226:                              ;   in Loop: Header=BB4_53 Depth=1
	s_and_saveexec_b32 s21, s4
	s_delay_alu instid0(SALU_CYCLE_1)
	s_xor_b32 s21, exec_lo, s21
	s_cbranch_execz .LBB4_244
; %bb.227:                              ;   in Loop: Header=BB4_53 Depth=1
	s_and_saveexec_b32 s22, s5
	s_cbranch_execz .LBB4_243
; %bb.228:                              ;   in Loop: Header=BB4_53 Depth=1
	s_mov_b32 s24, exec_lo
	s_mov_b32 s23, exec_lo
	v_mbcnt_lo_u32_b32 v25, s24, 0
	s_waitcnt lgkmcnt(0)
	s_waitcnt_vscnt null, 0x0
	buffer_gl1_inv
	buffer_gl0_inv
	v_cmpx_eq_u32_e32 0, v25
	s_cbranch_execz .LBB4_230
; %bb.229:                              ;   in Loop: Header=BB4_53 Depth=1
	s_bcnt1_i32_b32 s24, s24
	s_delay_alu instid0(SALU_CYCLE_1)
	v_mov_b32_e32 v25, s24
	ds_add_u64 v0, v[25:26]
	s_cbranch_execnz .LBB4_820
.LBB4_230:                              ;   in Loop: Header=BB4_53 Depth=1
	s_or_b32 exec_lo, exec_lo, s23
	s_cbranch_execnz .LBB4_806
; %bb.231:                              ;   in Loop: Header=BB4_53 Depth=1
	ds_load_b64 v[32:33], v0
	v_add_co_u32 v10, vcc_lo, v10, v50
	v_add_co_ci_u32_e32 v11, vcc_lo, 0, v11, vcc_lo
	s_mov_b32 s23, exec_lo
	s_waitcnt lgkmcnt(0)
	s_delay_alu instid0(VALU_DEP_1)
	v_cmpx_lt_u64_e64 v[32:33], v[10:11]
	s_cbranch_execz .LBB4_242
; %bb.232:                              ;   in Loop: Header=BB4_53 Depth=1
	s_mov_b32 s24, 0
	s_mov_b32 s27, 0
                                        ; implicit-def: $sgpr25
                                        ; implicit-def: $sgpr26
	s_branch .LBB4_234
.LBB4_233:                              ;   in Loop: Header=BB4_234 Depth=2
	s_or_b32 exec_lo, exec_lo, vcc_hi
	s_delay_alu instid0(SALU_CYCLE_1) | instskip(NEXT) | instid1(SALU_CYCLE_1)
	s_and_b32 s28, exec_lo, s29
	s_or_b32 s24, s28, s24
	s_and_not1_b32 s25, s25, exec_lo
	s_and_b32 s28, s26, exec_lo
	s_delay_alu instid0(SALU_CYCLE_1)
	s_or_b32 s25, s25, s28
	s_and_not1_b32 exec_lo, exec_lo, s24
	s_cbranch_execz .LBB4_240
.LBB4_234:                              ;   Parent Loop BB4_53 Depth=1
                                        ; =>  This Inner Loop Header: Depth=2
	s_add_i32 s27, s27, 1
                                        ; implicit-def: $sgpr29
	s_delay_alu instid0(SALU_CYCLE_1) | instskip(SKIP_1) | instid1(SALU_CYCLE_1)
	s_cmpk_lg_i32 s27, 0x2710
	s_cselect_b32 s28, -1, 0
	s_and_b32 vcc_lo, exec_lo, s28
	s_cbranch_vccz .LBB4_238
.LBB4_235:                              ;   in Loop: Header=BB4_234 Depth=2
	s_and_not1_b32 s26, s26, exec_lo
	s_and_b32 vcc_lo, s29, exec_lo
	s_mov_b32 s29, -1
	s_or_b32 s26, s26, vcc_lo
	s_and_saveexec_b32 vcc_hi, s28
	s_cbranch_execz .LBB4_233
; %bb.236:                              ;   in Loop: Header=BB4_234 Depth=2
	s_sleep 1
	s_cbranch_execnz .LBB4_866
; %bb.237:                              ;   in Loop: Header=BB4_234 Depth=2
	ds_load_b64 v[32:33], v0
	s_and_not1_b32 s26, s26, exec_lo
	s_waitcnt lgkmcnt(0)
	v_cmp_ge_u64_e32 vcc_lo, v[32:33], v[10:11]
	s_or_not1_b32 s29, vcc_lo, exec_lo
	s_branch .LBB4_233
.LBB4_238:                              ;   in Loop: Header=BB4_234 Depth=2
	s_cbranch_execnz .LBB4_886
; %bb.239:                              ;   in Loop: Header=BB4_234 Depth=2
	ds_load_b64 v[32:33], v0
	s_and_not1_b32 s28, s28, exec_lo
	s_mov_b32 s27, 0
	s_mov_b32 s29, -1
	s_waitcnt lgkmcnt(0)
	flat_load_b32 v25, v[32:33] glc
	s_waitcnt vmcnt(0) lgkmcnt(0)
	buffer_gl1_inv
	buffer_gl0_inv
	v_cmp_eq_u32_e32 vcc_lo, 0, v25
	s_and_b32 vcc_lo, vcc_lo, exec_lo
	s_delay_alu instid0(SALU_CYCLE_1)
	s_or_b32 s28, s28, vcc_lo
	s_branch .LBB4_235
.LBB4_240:                              ;   in Loop: Header=BB4_53 Depth=1
	s_or_b32 exec_lo, exec_lo, s24
	s_and_saveexec_b32 s24, s25
	s_delay_alu instid0(SALU_CYCLE_1)
	s_xor_b32 s24, exec_lo, s24
	s_cbranch_execz .LBB4_242
; %bb.241:                              ;   in Loop: Header=BB4_53 Depth=1
	ds_store_b32 v0, v71
	s_cbranch_execnz .LBB4_934
.LBB4_242:                              ;   in Loop: Header=BB4_53 Depth=1
	s_or_b32 exec_lo, exec_lo, s23
	;;#ASMSTART
	s_wakeup
	;;#ASMEND
.LBB4_243:                              ;   in Loop: Header=BB4_53 Depth=1
	s_or_b32 exec_lo, exec_lo, s22
.LBB4_244:                              ;   in Loop: Header=BB4_53 Depth=1
	s_and_not1_saveexec_b32 s21, s21
	s_cbranch_execz .LBB4_246
; %bb.245:                              ;   in Loop: Header=BB4_53 Depth=1
	s_waitcnt lgkmcnt(0)
	s_waitcnt_vscnt null, 0x0
	buffer_gl1_inv
	buffer_gl0_inv
	s_barrier
.LBB4_246:                              ;   in Loop: Header=BB4_53 Depth=1
	s_or_b32 exec_lo, exec_lo, s21
.LBB4_247:                              ;   in Loop: Header=BB4_53 Depth=1
	s_delay_alu instid0(SALU_CYCLE_1)
	s_or_b32 exec_lo, exec_lo, s11
	s_cbranch_execnz .LBB4_747
; %bb.248:                              ;   in Loop: Header=BB4_53 Depth=1
	ds_load_b32 v25, v0
	v_cmp_lt_i32_e32 vcc_lo, 0, v24
	s_waitcnt lgkmcnt(0)
	v_readfirstlane_b32 s11, v25
	v_and_b32_e32 v25, 16, v38
	s_delay_alu instid0(VALU_DEP_2) | instskip(NEXT) | instid1(VALU_DEP_1)
	s_cmp_eq_u32 s11, 0
	v_cmp_ne_u32_e64 s11, 0, v25
	s_cselect_b32 s21, -1, 0
	s_delay_alu instid0(SALU_CYCLE_1)
	s_and_b32 s21, vcc_lo, s21
	s_delay_alu instid0(VALU_DEP_1) | instid1(SALU_CYCLE_1)
	s_and_b32 s21, s11, s21
	s_delay_alu instid0(SALU_CYCLE_1)
	s_and_saveexec_b32 s11, s21
	s_cbranch_execz .LBB4_250
; %bb.249:                              ;   in Loop: Header=BB4_53 Depth=1
	s_waitcnt_vscnt null, 0x0
	buffer_gl1_inv
	buffer_gl0_inv
.LBB4_250:                              ;   in Loop: Header=BB4_53 Depth=1
	s_or_b32 exec_lo, exec_lo, s11
	v_cmp_ne_u32_e32 vcc_lo, 0, v25
	s_xor_b32 s11, s10, -1
	s_delay_alu instid0(SALU_CYCLE_1) | instskip(NEXT) | instid1(SALU_CYCLE_1)
	s_and_b32 s21, vcc_lo, s11
	s_and_saveexec_b32 s11, s21
	s_cbranch_execz .LBB4_252
; %bb.251:                              ;   in Loop: Header=BB4_53 Depth=1
	s_waitcnt_vscnt null, 0x0
	flat_store_b32 v[22:23], v71
.LBB4_252:                              ;   in Loop: Header=BB4_53 Depth=1
	s_or_b32 exec_lo, exec_lo, s11
	v_and_b32_e32 v24, 48, v38
	s_mov_b32 s11, exec_lo
	s_delay_alu instid0(VALU_DEP_1)
	v_cmpx_ne_u32_e32 0, v24
	s_cbranch_execz .LBB4_254
; %bb.253:                              ;   in Loop: Header=BB4_53 Depth=1
	v_add_co_u32 v8, vcc_lo, v8, 1
	v_add_co_ci_u32_e32 v9, vcc_lo, 0, v9, vcc_lo
	s_waitcnt lgkmcnt(0)
	s_waitcnt_vscnt null, 0x0
	flat_store_b64 v[16:17], v[8:9]
.LBB4_254:                              ;   in Loop: Header=BB4_53 Depth=1
	s_or_b32 exec_lo, exec_lo, s11
.LBB4_255:                              ;   in Loop: Header=BB4_53 Depth=1
	s_delay_alu instid0(SALU_CYCLE_1) | instskip(SKIP_2) | instid1(VALU_DEP_1)
	s_or_b32 exec_lo, exec_lo, s12
	v_add_co_u32 v27, vcc_lo, v27, v12
	v_add_co_ci_u32_e32 v28, vcc_lo, 0, v28, vcc_lo
	v_cmp_ge_u64_e32 vcc_lo, v[27:28], v[4:5]
	s_or_b32 s18, vcc_lo, s18
	s_delay_alu instid0(SALU_CYCLE_1)
	s_and_not1_b32 exec_lo, exec_lo, s18
	s_cbranch_execnz .LBB4_53
; %bb.256:
	s_or_b32 exec_lo, exec_lo, s18
.LBB4_257:
	s_delay_alu instid0(SALU_CYCLE_1)
	s_or_b32 exec_lo, exec_lo, s17
                                        ; implicit-def: $vgpr24_vgpr25
                                        ; implicit-def: $vgpr4_vgpr5
                                        ; implicit-def: $vgpr48
                                        ; implicit-def: $vgpr20_vgpr21
                                        ; implicit-def: $vgpr18_vgpr19
                                        ; implicit-def: $vgpr16_vgpr17
                                        ; implicit-def: $vgpr0
                                        ; implicit-def: $vgpr30
                                        ; implicit-def: $vgpr12_vgpr13
.LBB4_258:
	s_and_not1_saveexec_b32 s11, s16
	s_cbranch_execz .LBB4_453
; %bb.259:
	v_mov_b32_e32 v10, 0
	v_mov_b32_e32 v11, 0
	s_and_saveexec_b32 s12, s1
	s_cbranch_execz .LBB4_452
; %bb.260:
	v_cmp_ge_i32_e64 s1, v0, v1
	s_cbranch_execnz .LBB4_705
; %bb.261:
	v_ashrrev_i32_e32 v10, 31, v0
	v_lshrrev_b32_e32 v36, 5, v1
	v_and_b32_e32 v11, 31, v31
	s_lshr_b32 s4, s14, 27
	v_cmp_eq_u32_e32 vcc_lo, 32, v1
	v_lshrrev_b32_e32 v10, 27, v10
	v_dual_mov_b32 v68, 1 :: v_dual_lshlrev_b32 v49, 9, v36
	s_add_i32 s10, s14, s4
	v_cmp_eq_u32_e64 s4, 0, v11
	s_waitcnt lgkmcnt(2)
	v_dual_mov_b32 v23, 0 :: v_dual_add_nc_u32 v10, v0, v10
	v_add_nc_u32_e32 v26, 0xfffffe00, v49
	v_cmp_ne_u32_e64 s2, 32, v1
	v_cmp_ne_u32_e64 s3, v39, v1
	s_delay_alu instid0(VALU_DEP_4)
	v_and_b32_e32 v22, 0xffffffe0, v10
	v_ashrrev_i32_e32 v37, 5, v10
	v_lshl_add_u32 v10, v36, 10, 0xfffffc00
	v_add_co_u32 v64, s7, 0x200, v26
	s_ashr_i32 s17, s10, 5
	s_mov_b32 s16, 0
	s_delay_alu instid0(VALU_DEP_2)
	v_ashrrev_i32_e32 v11, 31, v10
	v_add_co_u32 v53, s5, 0x400, v10
	v_ashrrev_i32_e32 v10, 31, v26
	v_mov_b32_e32 v26, 0
	v_dual_mov_b32 v27, 0 :: v_dual_lshlrev_b32 v50, 7, v36
	v_sub_nc_u32_e32 v51, v0, v22
	v_lshlrev_b32_e32 v22, 10, v37
	v_add_co_ci_u32_e64 v65, s7, 0, v10, s7
	s_delay_alu instid0(VALU_DEP_4) | instskip(SKIP_1) | instid1(VALU_DEP_4)
	v_add_nc_u32_e32 v28, 0xffffff80, v50
	v_add_co_ci_u32_e64 v54, s5, 0, v11, s5
	v_lshl_add_u32 v52, v51, 4, v22
	v_cmp_le_i32_e64 s5, v51, v30
	s_delay_alu instid0(VALU_DEP_4) | instskip(SKIP_3) | instid1(VALU_DEP_4)
	v_ashrrev_i32_e32 v10, 31, v28
	v_add_co_u32 v66, s7, 0x80, v28
	v_cmp_gt_i32_e64 s6, 1, v51
	v_ashrrev_i32_e32 v55, 31, v52
	v_add_co_ci_u32_e64 v67, s7, 0, v10, s7
	v_dual_mov_b32 v10, v26 :: v_dual_mov_b32 v11, v27
	s_xor_b32 s18, vcc_lo, -1
.LBB4_262:                              ; =>This Loop Header: Depth=1
                                        ;     Child Loop BB4_272 Depth 2
                                        ;     Child Loop BB4_299 Depth 2
	;; [unrolled: 1-line block ×10, first 2 shown]
	v_sub_co_u32 v28, vcc_lo, v4, v26
	v_sub_co_ci_u32_e32 v29, vcc_lo, v5, v27, vcc_lo
	s_waitcnt lgkmcnt(0)
	v_mov_b32_e32 v34, 0
	s_delay_alu instid0(VALU_DEP_2) | instskip(SKIP_2) | instid1(VALU_DEP_2)
	v_cmp_lt_u64_e32 vcc_lo, v[12:13], v[28:29]
	v_cndmask_b32_e32 v28, v28, v12, vcc_lo
	v_cndmask_b32_e64 v29, v29, 0, vcc_lo
	v_add_nc_u32_e32 v22, 15, v28
	s_delay_alu instid0(VALU_DEP_2) | instskip(NEXT) | instid1(VALU_DEP_2)
	v_cmp_eq_u64_e32 vcc_lo, 0, v[28:29]
	v_and_b32_e32 v22, 0x1ffffff0, v22
	s_or_b32 s19, s1, vcc_lo
	s_delay_alu instid0(SALU_CYCLE_1) | instskip(NEXT) | instid1(VALU_DEP_1)
	s_xor_b32 s7, s19, -1
	v_max_i32_e32 v69, s17, v22
	s_and_saveexec_b32 s20, s7
	s_cbranch_execz .LBB4_397
; %bb.263:                              ;   in Loop: Header=BB4_262 Depth=1
	s_and_saveexec_b32 s10, s0
	s_cbranch_execz .LBB4_266
; %bb.264:                              ;   in Loop: Header=BB4_262 Depth=1
	s_cbranch_execnz .LBB4_737
; %bb.265:                              ;   in Loop: Header=BB4_262 Depth=1
	ds_load_2addr_b64 v[32:35], v0 offset1:1
	ds_load_b64 v[29:30], v0
	v_add_co_u32 v70, vcc_lo, v26, v24
	v_add_co_ci_u32_e32 v71, vcc_lo, v27, v25, vcc_lo
	s_delay_alu instid0(VALU_DEP_1) | instskip(SKIP_1) | instid1(VALU_DEP_1)
	v_lshlrev_b64 v[70:71], 2, v[70:71]
	s_waitcnt lgkmcnt(1)
	v_add_co_u32 v32, vcc_lo, v32, v70
	s_delay_alu instid0(VALU_DEP_2)
	v_add_co_ci_u32_e32 v33, vcc_lo, v33, v71, vcc_lo
	s_waitcnt lgkmcnt(0)
	v_add_co_u32 v22, vcc_lo, v29, v70
	v_add_co_ci_u32_e32 v80, vcc_lo, v30, v71, vcc_lo
	v_cmp_ne_u64_e32 vcc_lo, 0, v[29:30]
	v_add_co_u32 v29, s7, v34, v70
	s_delay_alu instid0(VALU_DEP_1) | instskip(NEXT) | instid1(VALU_DEP_4)
	v_add_co_ci_u32_e64 v30, s7, v35, v71, s7
	v_dual_cndmask_b32 v35, 0, v80 :: v_dual_cndmask_b32 v34, 0, v22
	ds_store_b64 v0, v[32:33]
	ds_store_b64 v0, v[29:30]
	ds_store_b64 v0, v[34:35]
.LBB4_266:                              ;   in Loop: Header=BB4_262 Depth=1
	s_or_b32 exec_lo, exec_lo, s10
	v_and_b32_e32 v22, 4, v38
	s_mov_b32 s10, -1
	s_mov_b32 s7, exec_lo
	s_delay_alu instid0(VALU_DEP_1)
	v_cmpx_ne_u32_e32 0, v22
	s_cbranch_execz .LBB4_280
; %bb.267:                              ;   in Loop: Header=BB4_262 Depth=1
	v_add_co_u32 v29, vcc_lo, v8, 1
	v_add_co_ci_u32_e32 v30, vcc_lo, 0, v9, vcc_lo
	v_mov_b32_e32 v22, 1
	s_mov_b32 s10, exec_lo
	s_delay_alu instid0(VALU_DEP_2)
	v_cmpx_lt_u64_e64 v[20:21], v[29:30]
	s_cbranch_execz .LBB4_279
; %bb.268:                              ;   in Loop: Header=BB4_262 Depth=1
	v_mov_b32_e32 v22, 0
	s_mov_b32 s21, 0
                                        ; implicit-def: $sgpr22
	s_branch .LBB4_272
.LBB4_269:                              ;   in Loop: Header=BB4_272 Depth=2
	s_or_b32 exec_lo, exec_lo, s26
	v_mov_b32_e32 v32, 0
	s_or_not1_b32 s25, s25, exec_lo
.LBB4_270:                              ;   in Loop: Header=BB4_272 Depth=2
	s_or_b32 exec_lo, exec_lo, s24
	s_delay_alu instid0(VALU_DEP_1) | instskip(SKIP_2) | instid1(SALU_CYCLE_1)
	v_mov_b32_e32 v22, v32
	s_and_not1_b32 s22, s22, exec_lo
	s_and_b32 s24, s25, exec_lo
	s_or_b32 s22, s22, s24
.LBB4_271:                              ;   in Loop: Header=BB4_272 Depth=2
	s_or_b32 exec_lo, exec_lo, s23
	s_waitcnt vmcnt(0) lgkmcnt(0)
	v_cmp_ge_u64_e32 vcc_lo, v[20:21], v[29:30]
	s_xor_b32 s23, s22, -1
	s_delay_alu instid0(SALU_CYCLE_1) | instskip(NEXT) | instid1(SALU_CYCLE_1)
	s_or_b32 s23, s23, vcc_lo
	s_and_b32 s23, exec_lo, s23
	s_delay_alu instid0(SALU_CYCLE_1) | instskip(NEXT) | instid1(SALU_CYCLE_1)
	s_or_b32 s21, s23, s21
	s_and_not1_b32 exec_lo, exec_lo, s21
	s_cbranch_execz .LBB4_278
.LBB4_272:                              ;   Parent Loop BB4_262 Depth=1
                                        ; =>  This Inner Loop Header: Depth=2
	s_sleep 1
	flat_load_b64 v[20:21], v[16:17] glc
	v_and_b32_e32 v32, 64, v38
	s_and_not1_b32 s22, s22, exec_lo
	s_mov_b32 s23, exec_lo
	s_delay_alu instid0(VALU_DEP_1)
	v_cmpx_eq_u32_e32 0, v32
	s_cbranch_execz .LBB4_271
; %bb.273:                              ;   in Loop: Header=BB4_272 Depth=2
	v_add_nc_u32_e32 v32, 1, v22
	s_mov_b32 s25, -1
	s_mov_b32 s24, exec_lo
	v_cmpx_lt_i32_e32 0x270e, v22
	s_cbranch_execz .LBB4_270
; %bb.274:                              ;   in Loop: Header=BB4_272 Depth=2
	s_cbranch_execnz .LBB4_762
; %bb.275:                              ;   in Loop: Header=BB4_272 Depth=2
	ds_load_b64 v[32:33], v0
	s_mov_b32 s26, exec_lo
	s_waitcnt vmcnt(0) lgkmcnt(0)
	s_waitcnt_vscnt null, 0x0
	flat_load_b32 v22, v[32:33] glc
	s_waitcnt vmcnt(0) lgkmcnt(0)
	buffer_gl1_inv
	buffer_gl0_inv
	v_cmpx_ne_u32_e32 0, v22
	s_cbranch_execz .LBB4_269
; %bb.276:                              ;   in Loop: Header=BB4_272 Depth=2
	ds_store_b32 v0, v22
	s_cbranch_execnz .LBB4_790
; %bb.277:                              ;   in Loop: Header=BB4_272 Depth=2
	v_or_b32_e32 v38, 64, v38
	s_xor_b32 s25, exec_lo, -1
	s_branch .LBB4_269
.LBB4_278:                              ;   in Loop: Header=BB4_262 Depth=1
	s_or_b32 exec_lo, exec_lo, s21
	v_and_b32_e32 v22, 4, v38
.LBB4_279:                              ;   in Loop: Header=BB4_262 Depth=1
	s_or_b32 exec_lo, exec_lo, s10
	s_delay_alu instid0(VALU_DEP_1)
	v_cmp_eq_u32_e32 vcc_lo, 0, v22
	;;#ASMSTART
	s_wakeup
	;;#ASMEND
	s_or_not1_b32 s10, vcc_lo, exec_lo
.LBB4_280:                              ;   in Loop: Header=BB4_262 Depth=1
	s_or_b32 exec_lo, exec_lo, s7
	s_xor_b32 s7, s10, -1
	s_delay_alu instid0(SALU_CYCLE_1)
	s_and_saveexec_b32 s10, s7
	s_cbranch_execz .LBB4_290
; %bb.281:                              ;   in Loop: Header=BB4_262 Depth=1
	v_and_b32_e32 v22, 0x100, v38
	s_mov_b32 s7, -1
                                        ; implicit-def: $vgpr29_vgpr30
	s_delay_alu instid0(VALU_DEP_1)
	v_cmp_ne_u32_e32 vcc_lo, 0, v22
	v_and_b32_e32 v22, 7, v8
	s_and_saveexec_b32 s21, vcc_lo
	s_cbranch_execz .LBB4_285
; %bb.282:                              ;   in Loop: Header=BB4_262 Depth=1
	s_delay_alu instid0(VALU_DEP_1) | instskip(SKIP_4) | instid1(VALU_DEP_1)
	v_mad_u64_u32 v[32:33], null, v22, 24, v[6:7]
	flat_load_b32 v29, v[32:33]
	s_waitcnt vmcnt(0) lgkmcnt(0)
	v_cmp_ne_u32_e32 vcc_lo, 1, v29
	v_cmp_eq_u32_e64 s7, 1, v29
                                        ; implicit-def: $vgpr29_vgpr30
	s_and_saveexec_b32 s22, s7
	s_cbranch_execz .LBB4_284
; %bb.283:                              ;   in Loop: Header=BB4_262 Depth=1
	flat_load_b32 v29, v[32:33] offset:4 glc
	s_waitcnt vmcnt(0) lgkmcnt(0)
	v_ashrrev_i32_e32 v30, 31, v29
	s_delay_alu instid0(VALU_DEP_1)
	v_lshrrev_b64 v[29:30], 2, v[29:30]
.LBB4_284:                              ;   in Loop: Header=BB4_262 Depth=1
	s_or_b32 exec_lo, exec_lo, s22
	s_delay_alu instid0(SALU_CYCLE_1)
	s_or_not1_b32 s7, vcc_lo, exec_lo
.LBB4_285:                              ;   in Loop: Header=BB4_262 Depth=1
	s_or_b32 exec_lo, exec_lo, s21
	s_and_saveexec_b32 s21, s7
; %bb.286:                              ;   in Loop: Header=BB4_262 Depth=1
	v_mad_i64_i32 v[29:30], null, v22, v48, 0
; %bb.287:                              ;   in Loop: Header=BB4_262 Depth=1
	s_or_b32 exec_lo, exec_lo, s21
	s_delay_alu instid0(VALU_DEP_1) | instskip(SKIP_2) | instid1(VALU_DEP_2)
	v_lshlrev_b64 v[29:30], 2, v[29:30]
	v_and_b32_e32 v22, 0x2000, v38
	s_mov_b32 s7, exec_lo
	v_add_co_u32 v29, vcc_lo, v18, v29
	s_delay_alu instid0(VALU_DEP_3)
	v_add_co_ci_u32_e32 v30, vcc_lo, v19, v30, vcc_lo
	ds_store_b64 v0, v[29:30] offset:728
	v_cmpx_ne_u32_e32 0, v22
	s_cbranch_execz .LBB4_289
; %bb.288:                              ;   in Loop: Header=BB4_262 Depth=1
	ds_load_b64 v[29:30], v0 offset:584
	s_waitcnt lgkmcnt(0)
	v_add_co_u32 v29, vcc_lo, v29, 1
	v_add_co_ci_u32_e32 v30, vcc_lo, 0, v30, vcc_lo
	ds_store_b64 v0, v[29:30] offset:584
.LBB4_289:                              ;   in Loop: Header=BB4_262 Depth=1
	s_or_b32 exec_lo, exec_lo, s7
	v_add_co_u32 v8, vcc_lo, v8, 1
	v_add_co_ci_u32_e32 v9, vcc_lo, 0, v9, vcc_lo
.LBB4_290:                              ;   in Loop: Header=BB4_262 Depth=1
	s_or_b32 exec_lo, exec_lo, s10
	s_and_saveexec_b32 s7, s2
	s_cbranch_execz .LBB4_312
; %bb.291:                              ;   in Loop: Header=BB4_262 Depth=1
	s_and_saveexec_b32 s10, s3
	s_delay_alu instid0(SALU_CYCLE_1)
	s_xor_b32 s10, exec_lo, s10
	s_cbranch_execz .LBB4_309
; %bb.292:                              ;   in Loop: Header=BB4_262 Depth=1
	s_and_saveexec_b32 s21, s4
	s_cbranch_execz .LBB4_308
; %bb.293:                              ;   in Loop: Header=BB4_262 Depth=1
	s_mov_b32 s23, exec_lo
	s_mov_b32 s22, exec_lo
	v_mbcnt_lo_u32_b32 v22, s23, 0
	s_waitcnt lgkmcnt(0)
	s_waitcnt_vscnt null, 0x0
	buffer_gl1_inv
	buffer_gl0_inv
	v_cmpx_eq_u32_e32 0, v22
	s_cbranch_execz .LBB4_295
; %bb.294:                              ;   in Loop: Header=BB4_262 Depth=1
	s_bcnt1_i32_b32 s23, s23
	s_delay_alu instid0(SALU_CYCLE_1)
	v_mov_b32_e32 v22, s23
	ds_add_u64 v0, v[22:23]
	s_cbranch_execnz .LBB4_808
.LBB4_295:                              ;   in Loop: Header=BB4_262 Depth=1
	s_or_b32 exec_lo, exec_lo, s22
	s_cbranch_execnz .LBB4_796
; %bb.296:                              ;   in Loop: Header=BB4_262 Depth=1
	ds_load_b64 v[29:30], v0
	v_add_co_u32 v10, vcc_lo, v10, v36
	v_add_co_ci_u32_e32 v11, vcc_lo, 0, v11, vcc_lo
	s_mov_b32 s22, exec_lo
	s_waitcnt lgkmcnt(0)
	s_delay_alu instid0(VALU_DEP_1)
	v_cmpx_lt_u64_e64 v[29:30], v[10:11]
	s_cbranch_execz .LBB4_307
; %bb.297:                              ;   in Loop: Header=BB4_262 Depth=1
	s_mov_b32 s23, 0
	s_mov_b32 s26, 0
                                        ; implicit-def: $sgpr24
                                        ; implicit-def: $sgpr25
	s_branch .LBB4_299
.LBB4_298:                              ;   in Loop: Header=BB4_299 Depth=2
	s_or_b32 exec_lo, exec_lo, s29
	s_delay_alu instid0(SALU_CYCLE_1) | instskip(NEXT) | instid1(SALU_CYCLE_1)
	s_and_b32 s27, exec_lo, s28
	s_or_b32 s23, s27, s23
	s_and_not1_b32 s24, s24, exec_lo
	s_and_b32 s27, s25, exec_lo
	s_delay_alu instid0(SALU_CYCLE_1)
	s_or_b32 s24, s24, s27
	s_and_not1_b32 exec_lo, exec_lo, s23
	s_cbranch_execz .LBB4_305
.LBB4_299:                              ;   Parent Loop BB4_262 Depth=1
                                        ; =>  This Inner Loop Header: Depth=2
	s_add_i32 s26, s26, 1
                                        ; implicit-def: $sgpr28
	s_delay_alu instid0(SALU_CYCLE_1) | instskip(SKIP_1) | instid1(SALU_CYCLE_1)
	s_cmpk_lg_i32 s26, 0x2710
	s_cselect_b32 s27, -1, 0
	s_and_b32 vcc_lo, exec_lo, s27
	s_cbranch_vccz .LBB4_303
.LBB4_300:                              ;   in Loop: Header=BB4_299 Depth=2
	s_and_not1_b32 s25, s25, exec_lo
	s_and_b32 s29, s28, exec_lo
	s_mov_b32 s28, -1
	s_or_b32 s25, s25, s29
	s_and_saveexec_b32 s29, s27
	s_cbranch_execz .LBB4_298
; %bb.301:                              ;   in Loop: Header=BB4_299 Depth=2
	s_sleep 1
	s_cbranch_execnz .LBB4_840
; %bb.302:                              ;   in Loop: Header=BB4_299 Depth=2
	ds_load_b64 v[29:30], v0
	s_and_not1_b32 s25, s25, exec_lo
	s_waitcnt lgkmcnt(0)
	v_cmp_ge_u64_e32 vcc_lo, v[29:30], v[10:11]
	s_or_not1_b32 s28, vcc_lo, exec_lo
	s_branch .LBB4_298
.LBB4_303:                              ;   in Loop: Header=BB4_299 Depth=2
	s_cbranch_execnz .LBB4_852
; %bb.304:                              ;   in Loop: Header=BB4_299 Depth=2
	ds_load_b64 v[29:30], v0
	s_and_not1_b32 s27, s27, exec_lo
	s_mov_b32 s26, 0
	s_mov_b32 s28, -1
	s_waitcnt lgkmcnt(0)
	flat_load_b32 v22, v[29:30] glc
	s_waitcnt vmcnt(0) lgkmcnt(0)
	buffer_gl1_inv
	buffer_gl0_inv
	v_cmp_eq_u32_e32 vcc_lo, 0, v22
	s_and_b32 s29, vcc_lo, exec_lo
	s_delay_alu instid0(SALU_CYCLE_1)
	s_or_b32 s27, s27, s29
	s_branch .LBB4_300
.LBB4_305:                              ;   in Loop: Header=BB4_262 Depth=1
	s_or_b32 exec_lo, exec_lo, s23
	s_and_saveexec_b32 s23, s24
	s_delay_alu instid0(SALU_CYCLE_1)
	s_xor_b32 s23, exec_lo, s23
	s_cbranch_execz .LBB4_307
; %bb.306:                              ;   in Loop: Header=BB4_262 Depth=1
	ds_store_b32 v0, v68
	s_cbranch_execnz .LBB4_926
.LBB4_307:                              ;   in Loop: Header=BB4_262 Depth=1
	s_or_b32 exec_lo, exec_lo, s22
	;;#ASMSTART
	s_wakeup
	;;#ASMEND
.LBB4_308:                              ;   in Loop: Header=BB4_262 Depth=1
	s_or_b32 exec_lo, exec_lo, s21
.LBB4_309:                              ;   in Loop: Header=BB4_262 Depth=1
	s_and_not1_saveexec_b32 s10, s10
	s_cbranch_execz .LBB4_311
; %bb.310:                              ;   in Loop: Header=BB4_262 Depth=1
	s_waitcnt lgkmcnt(0)
	s_waitcnt_vscnt null, 0x0
	buffer_gl1_inv
	buffer_gl0_inv
	s_barrier
.LBB4_311:                              ;   in Loop: Header=BB4_262 Depth=1
	s_or_b32 exec_lo, exec_lo, s10
.LBB4_312:                              ;   in Loop: Header=BB4_262 Depth=1
	s_delay_alu instid0(SALU_CYCLE_1)
	s_or_b32 exec_lo, exec_lo, s7
	s_cbranch_execnz .LBB4_733
; %bb.313:                              ;   in Loop: Header=BB4_262 Depth=1
	ds_load_b32 v29, v0
	v_and_b32_e32 v22, 0x4000, v38
	s_delay_alu instid0(VALU_DEP_1) | instskip(SKIP_1) | instid1(SALU_CYCLE_1)
	v_cmp_ne_u32_e32 vcc_lo, 0, v22
	s_and_b32 s10, s18, vcc_lo
	s_and_saveexec_b32 s7, s10
	s_cbranch_execz .LBB4_335
; %bb.314:                              ;   in Loop: Header=BB4_262 Depth=1
	s_and_saveexec_b32 s10, s3
	s_delay_alu instid0(SALU_CYCLE_1)
	s_xor_b32 s10, exec_lo, s10
	s_cbranch_execz .LBB4_332
; %bb.315:                              ;   in Loop: Header=BB4_262 Depth=1
	s_and_saveexec_b32 s21, s4
	s_cbranch_execz .LBB4_331
; %bb.316:                              ;   in Loop: Header=BB4_262 Depth=1
	s_mov_b32 s23, exec_lo
	s_mov_b32 s22, exec_lo
	v_mbcnt_lo_u32_b32 v22, s23, 0
	s_waitcnt lgkmcnt(0)
	s_waitcnt_vscnt null, 0x0
	buffer_gl1_inv
	buffer_gl0_inv
	v_cmpx_eq_u32_e32 0, v22
	s_cbranch_execz .LBB4_318
; %bb.317:                              ;   in Loop: Header=BB4_262 Depth=1
	s_bcnt1_i32_b32 s23, s23
	s_delay_alu instid0(SALU_CYCLE_1)
	v_mov_b32_e32 v22, s23
	ds_add_u64 v0, v[22:23]
	s_cbranch_execnz .LBB4_836
.LBB4_318:                              ;   in Loop: Header=BB4_262 Depth=1
	s_or_b32 exec_lo, exec_lo, s22
	s_cbranch_execnz .LBB4_822
; %bb.319:                              ;   in Loop: Header=BB4_262 Depth=1
	ds_load_b64 v[32:33], v0
	v_add_co_u32 v10, vcc_lo, v10, v36
	v_add_co_ci_u32_e32 v11, vcc_lo, 0, v11, vcc_lo
	s_mov_b32 s22, exec_lo
	s_waitcnt lgkmcnt(0)
	s_delay_alu instid0(VALU_DEP_1)
	v_cmpx_lt_u64_e64 v[32:33], v[10:11]
	s_cbranch_execz .LBB4_330
; %bb.320:                              ;   in Loop: Header=BB4_262 Depth=1
	s_mov_b32 s23, 0
	s_mov_b32 s26, 0
                                        ; implicit-def: $sgpr24
                                        ; implicit-def: $sgpr25
	s_branch .LBB4_322
.LBB4_321:                              ;   in Loop: Header=BB4_322 Depth=2
	s_or_b32 exec_lo, exec_lo, s29
	s_delay_alu instid0(SALU_CYCLE_1) | instskip(NEXT) | instid1(SALU_CYCLE_1)
	s_and_b32 s27, exec_lo, s28
	s_or_b32 s23, s27, s23
	s_and_not1_b32 s24, s24, exec_lo
	s_and_b32 s27, s25, exec_lo
	s_delay_alu instid0(SALU_CYCLE_1)
	s_or_b32 s24, s24, s27
	s_and_not1_b32 exec_lo, exec_lo, s23
	s_cbranch_execz .LBB4_328
.LBB4_322:                              ;   Parent Loop BB4_262 Depth=1
                                        ; =>  This Inner Loop Header: Depth=2
	s_add_i32 s26, s26, 1
                                        ; implicit-def: $sgpr28
	s_delay_alu instid0(SALU_CYCLE_1) | instskip(SKIP_1) | instid1(SALU_CYCLE_1)
	s_cmpk_lg_i32 s26, 0x2710
	s_cselect_b32 s27, -1, 0
	s_and_b32 vcc_lo, exec_lo, s27
	s_cbranch_vccz .LBB4_326
.LBB4_323:                              ;   in Loop: Header=BB4_322 Depth=2
	s_and_not1_b32 s25, s25, exec_lo
	s_and_b32 s29, s28, exec_lo
	s_mov_b32 s28, -1
	s_or_b32 s25, s25, s29
	s_and_saveexec_b32 s29, s27
	s_cbranch_execz .LBB4_321
; %bb.324:                              ;   in Loop: Header=BB4_322 Depth=2
	s_sleep 1
	s_cbranch_execnz .LBB4_888
; %bb.325:                              ;   in Loop: Header=BB4_322 Depth=2
	ds_load_b64 v[32:33], v0
	s_and_not1_b32 s25, s25, exec_lo
	s_waitcnt lgkmcnt(0)
	v_cmp_ge_u64_e32 vcc_lo, v[32:33], v[10:11]
	s_or_not1_b32 s28, vcc_lo, exec_lo
	s_branch .LBB4_321
.LBB4_326:                              ;   in Loop: Header=BB4_322 Depth=2
	s_cbranch_execnz .LBB4_898
; %bb.327:                              ;   in Loop: Header=BB4_322 Depth=2
	ds_load_b64 v[32:33], v0
	s_and_not1_b32 s27, s27, exec_lo
	s_mov_b32 s26, 0
	s_mov_b32 s28, -1
	s_waitcnt lgkmcnt(0)
	flat_load_b32 v22, v[32:33] glc
	s_waitcnt vmcnt(0) lgkmcnt(0)
	buffer_gl1_inv
	buffer_gl0_inv
	v_cmp_eq_u32_e32 vcc_lo, 0, v22
	s_and_b32 s29, vcc_lo, exec_lo
	s_delay_alu instid0(SALU_CYCLE_1)
	s_or_b32 s27, s27, s29
	s_branch .LBB4_323
.LBB4_328:                              ;   in Loop: Header=BB4_262 Depth=1
	s_or_b32 exec_lo, exec_lo, s23
	s_and_saveexec_b32 s23, s24
	s_delay_alu instid0(SALU_CYCLE_1)
	s_xor_b32 s23, exec_lo, s23
	s_cbranch_execz .LBB4_330
; %bb.329:                              ;   in Loop: Header=BB4_262 Depth=1
	ds_store_b32 v0, v68
	s_cbranch_execnz .LBB4_936
.LBB4_330:                              ;   in Loop: Header=BB4_262 Depth=1
	s_or_b32 exec_lo, exec_lo, s22
	;;#ASMSTART
	s_wakeup
	;;#ASMEND
.LBB4_331:                              ;   in Loop: Header=BB4_262 Depth=1
	s_or_b32 exec_lo, exec_lo, s21
.LBB4_332:                              ;   in Loop: Header=BB4_262 Depth=1
	s_and_not1_saveexec_b32 s10, s10
	s_cbranch_execz .LBB4_334
; %bb.333:                              ;   in Loop: Header=BB4_262 Depth=1
	s_waitcnt lgkmcnt(0)
	s_waitcnt_vscnt null, 0x0
	buffer_gl1_inv
	buffer_gl0_inv
	s_barrier
.LBB4_334:                              ;   in Loop: Header=BB4_262 Depth=1
	s_or_b32 exec_lo, exec_lo, s10
.LBB4_335:                              ;   in Loop: Header=BB4_262 Depth=1
	s_delay_alu instid0(SALU_CYCLE_1)
	s_or_b32 exec_lo, exec_lo, s7
	s_cbranch_execnz .LBB4_766
; %bb.336:                              ;   in Loop: Header=BB4_262 Depth=1
	ds_load_b64 v[32:33], v0
	v_min_u32_e32 v69, v69, v28
	s_waitcnt lgkmcnt(0)
	v_cmp_eq_u64_e32 vcc_lo, 0, v[32:33]
	s_or_b32 s7, vcc_lo, vcc_lo
	s_delay_alu instid0(SALU_CYCLE_1)
	s_and_b32 vcc_lo, exec_lo, s7
	s_mov_b32 s7, 0
	s_cbranch_vccnz .LBB4_370
; %bb.337:                              ;   in Loop: Header=BB4_262 Depth=1
	s_mov_b32 s7, -1
	s_and_saveexec_b32 s10, s5
	s_cbranch_execz .LBB4_339
; %bb.338:                              ;   in Loop: Header=BB4_262 Depth=1
	ds_load_b32 v22, v0 offset:720
	s_waitcnt lgkmcnt(0)
	v_and_b32_e32 v22, 15, v22
	s_delay_alu instid0(VALU_DEP_1)
	v_cmp_eq_u32_e32 vcc_lo, 0, v22
	s_or_not1_b32 s7, vcc_lo, exec_lo
.LBB4_339:                              ;   in Loop: Header=BB4_262 Depth=1
	s_or_b32 exec_lo, exec_lo, s10
	s_and_saveexec_b32 s10, s6
	s_cbranch_execz .LBB4_341
; %bb.340:                              ;   in Loop: Header=BB4_262 Depth=1
	ds_load_b32 v22, v0 offset:784
	s_waitcnt lgkmcnt(0)
	v_and_b32_e32 v22, 15, v22
	s_delay_alu instid0(VALU_DEP_1) | instskip(SKIP_3) | instid1(SALU_CYCLE_1)
	v_cmp_eq_u32_e32 vcc_lo, 0, v22
	s_and_b32 s21, s7, vcc_lo
	s_and_not1_b32 s7, s7, exec_lo
	s_and_b32 s21, s21, exec_lo
	s_or_b32 s7, s7, s21
.LBB4_341:                              ;   in Loop: Header=BB4_262 Depth=1
	s_or_b32 exec_lo, exec_lo, s10
	v_cmp_eq_u32_e32 vcc_lo, 0, v29
	s_xor_b32 s7, s7, -1
	v_mov_b32_e32 v71, 0
	v_cndmask_b32_e64 v30, 0, 1, s7
	;;#ASMSTART
	;;#ASMEND
	v_cndmask_b32_e32 v22, 0, v69, vcc_lo
	s_delay_alu instid0(VALU_DEP_2) | instskip(SKIP_1) | instid1(VALU_DEP_2)
	v_cmp_ne_u32_e32 vcc_lo, 0, v30
	s_mov_b32 s7, -1
	v_lshlrev_b32_e32 v70, 2, v22
	s_cbranch_vccz .LBB4_343
; %bb.342:                              ;   in Loop: Header=BB4_262 Depth=1
	v_dual_mov_b32 v80, v0 :: v_dual_mov_b32 v29, v37
	s_branch .LBB4_358
.LBB4_343:                              ;   in Loop: Header=BB4_262 Depth=1
	v_lshrrev_b32_e32 v71, 8, v22
	s_mov_b32 s10, exec_lo
	s_delay_alu instid0(VALU_DEP_1) | instskip(NEXT) | instid1(VALU_DEP_1)
	v_sub_nc_u32_e32 v82, v71, v37
	v_cmpx_lt_i32_e32 0, v82
	s_cbranch_execz .LBB4_348
; %bb.344:                              ;   in Loop: Header=BB4_262 Depth=1
	s_cbranch_execnz .LBB4_854
; %bb.345:                              ;   in Loop: Header=BB4_262 Depth=1
	ds_load_b128 v[32:35], v0
	ds_load_b64 v[80:81], v0
	s_mov_b32 s21, 0
	s_waitcnt lgkmcnt(1)
	v_add_co_u32 v29, vcc_lo, v32, v52
	v_add_co_ci_u32_e32 v30, vcc_lo, v33, v55, vcc_lo
	v_add_co_u32 v32, vcc_lo, v34, v52
	v_add_co_ci_u32_e32 v33, vcc_lo, v35, v55, vcc_lo
	s_waitcnt lgkmcnt(0)
	v_add_co_u32 v34, vcc_lo, v80, v52
	v_add_co_ci_u32_e32 v35, vcc_lo, v81, v55, vcc_lo
	s_set_inst_prefetch_distance 0x1
.LBB4_346:                              ;   Parent Loop BB4_262 Depth=1
                                        ; =>  This Inner Loop Header: Depth=2
	global_load_b128 v[83:86], v[32:33], off slc dlc
	s_clause 0x1
	global_load_b128 v[96:99], v[29:30], off slc dlc
	global_load_b128 v[100:103], v[29:30], off offset:512 slc dlc
	global_load_b128 v[112:115], v[32:33], off offset:512 slc dlc
	v_add_co_u32 v29, vcc_lo, v29, v53
	v_sub_nc_u32_e32 v82, v82, v36
	v_add_co_ci_u32_e32 v30, vcc_lo, v30, v54, vcc_lo
	v_add_co_u32 v32, vcc_lo, v32, v53
	v_add_co_ci_u32_e32 v33, vcc_lo, v33, v54, vcc_lo
	s_delay_alu instid0(VALU_DEP_4)
	v_cmp_gt_i32_e32 vcc_lo, 1, v82
	s_or_b32 s21, vcc_lo, s21
	s_waitcnt vmcnt(2)
	v_dual_mul_f32 v83, v96, v83 :: v_dual_mul_f32 v84, v97, v84
	v_dual_mul_f32 v85, v98, v85 :: v_dual_mul_f32 v86, v99, v86
	s_waitcnt vmcnt(0)
	v_dual_mul_f32 v96, v100, v112 :: v_dual_mul_f32 v97, v101, v113
	v_dual_mul_f32 v98, v102, v114 :: v_dual_mul_f32 v99, v103, v115
	s_clause 0x1
	global_store_b128 v[34:35], v[83:86], off glc slc dlc
	global_store_b128 v[34:35], v[96:99], off offset:512 glc slc dlc
	v_add_co_u32 v34, s7, v34, v53
	s_delay_alu instid0(VALU_DEP_1)
	v_add_co_ci_u32_e64 v35, s7, v35, v54, s7
	s_and_not1_b32 exec_lo, exec_lo, s21
	s_cbranch_execnz .LBB4_346
; %bb.347:                              ;   in Loop: Header=BB4_262 Depth=1
	s_set_inst_prefetch_distance 0x2
	s_or_b32 exec_lo, exec_lo, s21
.LBB4_348:                              ;   in Loop: Header=BB4_262 Depth=1
	s_delay_alu instid0(SALU_CYCLE_1) | instskip(SKIP_4) | instid1(VALU_DEP_2)
	s_or_b32 exec_lo, exec_lo, s10
	v_lshlrev_b32_e32 v81, 10, v71
	v_mov_b32_e32 v71, 0
	s_mov_b32 s7, 0
	s_mov_b32 s21, exec_lo
                                        ; implicit-def: $vgpr80
                                        ; implicit-def: $vgpr29
	v_cmpx_ne_u32_e64 v70, v81
	s_cbranch_execz .LBB4_357
; %bb.349:                              ;   in Loop: Header=BB4_262 Depth=1
	v_lshlrev_b32_e32 v29, 5, v82
	v_sub_nc_u32_e32 v32, v70, v81
	s_mov_b32 s22, exec_lo
	s_delay_alu instid0(VALU_DEP_2) | instskip(NEXT) | instid1(VALU_DEP_2)
	v_sub_nc_u32_e32 v29, v51, v29
	v_ashrrev_i32_e32 v33, 31, v32
	s_delay_alu instid0(VALU_DEP_2) | instskip(NEXT) | instid1(VALU_DEP_2)
	v_ashrrev_i32_e32 v30, 31, v29
	v_lshrrev_b32_e32 v33, 23, v33
	s_delay_alu instid0(VALU_DEP_2) | instskip(NEXT) | instid1(VALU_DEP_2)
	v_lshrrev_b32_e32 v30, 27, v30
	v_add_nc_u32_e32 v33, v32, v33
	s_delay_alu instid0(VALU_DEP_2) | instskip(NEXT) | instid1(VALU_DEP_2)
	v_add_nc_u32_e32 v30, v29, v30
	v_and_b32_e32 v82, 0xfffffe00, v33
	v_ashrrev_i32_e32 v33, 9, v33
	s_delay_alu instid0(VALU_DEP_3) | instskip(NEXT) | instid1(VALU_DEP_3)
	v_and_b32_e32 v34, 0xffffffe0, v30
	v_sub_nc_u32_e32 v84, v32, v82
	v_ashrrev_i32_e32 v30, 5, v30
	s_delay_alu instid0(VALU_DEP_3) | instskip(NEXT) | instid1(VALU_DEP_3)
	v_sub_nc_u32_e32 v83, v29, v34
	v_cmp_lt_i32_e32 vcc_lo, 15, v84
	s_delay_alu instid0(VALU_DEP_2) | instskip(SKIP_1) | instid1(VALU_DEP_2)
	v_lshlrev_b32_e32 v29, 4, v83
	v_add_co_ci_u32_e64 v33, s7, 0, v33, vcc_lo
	v_lshl_add_u32 v29, v30, 9, v29
	s_delay_alu instid0(VALU_DEP_2) | instskip(NEXT) | instid1(VALU_DEP_2)
	v_sub_nc_u32_e32 v85, v33, v30
	v_sub_nc_u32_e32 v71, v32, v29
	s_delay_alu instid0(VALU_DEP_1)
	v_cmpx_lt_i32_e32 15, v71
	s_cbranch_execz .LBB4_354
; %bb.350:                              ;   in Loop: Header=BB4_262 Depth=1
	s_cbranch_execnz .LBB4_908
; %bb.351:                              ;   in Loop: Header=BB4_262 Depth=1
	ds_load_b128 v[32:35], v0
	ds_load_b64 v[86:87], v0
	v_add_nc_u32_e32 v80, v29, v81
	s_mov_b32 s23, 0
	s_delay_alu instid0(VALU_DEP_1) | instskip(SKIP_2) | instid1(VALU_DEP_1)
	v_ashrrev_i32_e32 v96, 31, v80
	s_waitcnt lgkmcnt(1)
	v_add_co_u32 v29, s7, v32, v80
	v_add_co_ci_u32_e64 v30, s7, v33, v96, s7
	v_add_co_u32 v32, s7, v34, v80
	s_delay_alu instid0(VALU_DEP_1) | instskip(SKIP_2) | instid1(VALU_DEP_1)
	v_add_co_ci_u32_e64 v33, s7, v35, v96, s7
	s_waitcnt lgkmcnt(0)
	v_add_co_u32 v34, s7, v86, v80
	v_add_co_ci_u32_e64 v35, s7, v87, v96, s7
.LBB4_352:                              ;   Parent Loop BB4_262 Depth=1
                                        ; =>  This Inner Loop Header: Depth=2
	global_load_b128 v[96:99], v[29:30], off slc dlc
	global_load_b128 v[100:103], v[32:33], off slc dlc
	v_add_co_u32 v29, s7, v29, v64
	v_sub_nc_u32_e32 v71, v71, v49
	v_add_co_ci_u32_e64 v30, s7, v30, v65, s7
	v_add_co_u32 v32, s7, v32, v64
	s_delay_alu instid0(VALU_DEP_1) | instskip(NEXT) | instid1(VALU_DEP_4)
	v_add_co_ci_u32_e64 v33, s7, v33, v65, s7
	v_cmp_gt_i32_e64 s7, 16, v71
	v_sub_nc_u32_e32 v85, v85, v36
	s_delay_alu instid0(VALU_DEP_2)
	s_or_b32 s23, s7, s23
	s_waitcnt vmcnt(0)
	v_dual_mul_f32 v96, v96, v100 :: v_dual_mul_f32 v97, v97, v101
	v_dual_mul_f32 v98, v98, v102 :: v_dual_mul_f32 v99, v99, v103
	global_store_b128 v[34:35], v[96:99], off glc slc dlc
	v_add_co_u32 v34, s10, v34, v64
	s_delay_alu instid0(VALU_DEP_1)
	v_add_co_ci_u32_e64 v35, s10, v35, v65, s10
	s_and_not1_b32 exec_lo, exec_lo, s23
	s_cbranch_execnz .LBB4_352
; %bb.353:                              ;   in Loop: Header=BB4_262 Depth=1
	s_or_b32 exec_lo, exec_lo, s23
.LBB4_354:                              ;   in Loop: Header=BB4_262 Depth=1
	s_delay_alu instid0(SALU_CYCLE_1) | instskip(SKIP_3) | instid1(VALU_DEP_1)
	s_or_b32 exec_lo, exec_lo, s22
	v_dual_mov_b32 v71, 0 :: v_dual_and_b32 v30, 12, v70
	s_mov_b32 s10, 0
	s_mov_b32 s22, exec_lo
                                        ; implicit-def: $vgpr80
                                        ; implicit-def: $vgpr29
	v_cndmask_b32_e32 v70, v84, v30, vcc_lo
	s_delay_alu instid0(VALU_DEP_1)
	v_cmpx_ne_u32_e32 0, v70
; %bb.355:                              ;   in Loop: Header=BB4_262 Depth=1
	v_cmp_lt_i32_e64 s7, 0, v85
	v_sub_nc_u32_e32 v30, v84, v30
	s_mov_b32 s10, exec_lo
	s_delay_alu instid0(VALU_DEP_2) | instskip(NEXT) | instid1(VALU_DEP_1)
	v_cndmask_b32_e64 v29, 0, v36, s7
	v_sub_nc_u32_e32 v29, v29, v85
	s_delay_alu instid0(VALU_DEP_1) | instskip(NEXT) | instid1(VALU_DEP_1)
	v_lshl_add_u32 v80, v29, 5, v83
	v_ashrrev_i32_e32 v29, 31, v80
	s_delay_alu instid0(VALU_DEP_1) | instskip(NEXT) | instid1(VALU_DEP_1)
	v_lshrrev_b32_e32 v29, 27, v29
	v_dual_cndmask_b32 v30, 0, v30 :: v_dual_add_nc_u32 v29, v80, v29
	s_delay_alu instid0(VALU_DEP_1) | instskip(NEXT) | instid1(VALU_DEP_2)
	v_add3_u32 v71, v82, v81, v30
	v_ashrrev_i32_e32 v29, 5, v29
; %bb.356:                              ;   in Loop: Header=BB4_262 Depth=1
	s_or_b32 exec_lo, exec_lo, s22
	s_delay_alu instid0(SALU_CYCLE_1)
	s_and_b32 s7, s10, exec_lo
.LBB4_357:                              ;   in Loop: Header=BB4_262 Depth=1
	s_or_b32 exec_lo, exec_lo, s21
.LBB4_358:                              ;   in Loop: Header=BB4_262 Depth=1
	s_and_saveexec_b32 s10, s7
	s_cbranch_execz .LBB4_369
; %bb.359:                              ;   in Loop: Header=BB4_262 Depth=1
	v_ashrrev_i32_e32 v30, 31, v70
	s_mov_b32 s21, exec_lo
	s_delay_alu instid0(VALU_DEP_1) | instskip(NEXT) | instid1(VALU_DEP_1)
	v_lshrrev_b32_e32 v30, 23, v30
	v_add_nc_u32_e32 v30, v70, v30
	s_delay_alu instid0(VALU_DEP_1) | instskip(NEXT) | instid1(VALU_DEP_1)
	v_ashrrev_i32_e32 v82, 9, v30
	v_sub_nc_u32_e32 v81, v82, v29
	s_delay_alu instid0(VALU_DEP_1)
	v_cmpx_lt_i32_e32 0, v81
	s_cbranch_execz .LBB4_364
; %bb.360:                              ;   in Loop: Header=BB4_262 Depth=1
	s_cbranch_execnz .LBB4_848
; %bb.361:                              ;   in Loop: Header=BB4_262 Depth=1
	v_ashrrev_i32_e32 v30, 31, v80
	ds_load_b128 v[32:35], v0
	ds_load_b64 v[83:84], v0
	v_lshlrev_b32_e32 v29, 9, v29
	s_mov_b32 s22, 0
	v_lshrrev_b32_e32 v30, 27, v30
	s_delay_alu instid0(VALU_DEP_1) | instskip(NEXT) | instid1(VALU_DEP_1)
	v_add_nc_u32_e32 v30, v80, v30
	v_and_b32_e32 v30, 0x3fffffe0, v30
	s_delay_alu instid0(VALU_DEP_1) | instskip(NEXT) | instid1(VALU_DEP_1)
	v_sub_nc_u32_e32 v30, v80, v30
	v_lshlrev_b32_e32 v30, 2, v30
	s_delay_alu instid0(VALU_DEP_1) | instskip(NEXT) | instid1(VALU_DEP_1)
	v_add3_u32 v85, v30, v71, v29
	v_ashrrev_i32_e32 v86, 31, v85
	s_waitcnt lgkmcnt(1)
	v_add_co_u32 v29, vcc_lo, v32, v85
	s_delay_alu instid0(VALU_DEP_2)
	v_add_co_ci_u32_e32 v30, vcc_lo, v33, v86, vcc_lo
	v_add_co_u32 v32, vcc_lo, v34, v85
	v_add_co_ci_u32_e32 v33, vcc_lo, v35, v86, vcc_lo
	s_waitcnt lgkmcnt(0)
	v_add_co_u32 v34, vcc_lo, v83, v85
	v_add_co_ci_u32_e32 v35, vcc_lo, v84, v86, vcc_lo
	s_set_inst_prefetch_distance 0x1
.LBB4_362:                              ;   Parent Loop BB4_262 Depth=1
                                        ; =>  This Inner Loop Header: Depth=2
	s_clause 0x3
	flat_load_b32 v83, v[29:30] slc dlc
	flat_load_b32 v84, v[29:30] offset:128 slc dlc
	flat_load_b32 v85, v[29:30] offset:256 slc dlc
	;; [unrolled: 1-line block ×3, first 2 shown]
	s_clause 0x3
	flat_load_b32 v87, v[32:33] slc dlc
	flat_load_b32 v96, v[32:33] offset:128 slc dlc
	flat_load_b32 v97, v[32:33] offset:256 slc dlc
	;; [unrolled: 1-line block ×3, first 2 shown]
	v_add_co_u32 v29, vcc_lo, v29, v64
	v_sub_nc_u32_e32 v81, v81, v36
	v_add_co_ci_u32_e32 v30, vcc_lo, v30, v65, vcc_lo
	v_add_co_u32 v32, vcc_lo, v32, v64
	v_add_co_ci_u32_e32 v33, vcc_lo, v33, v65, vcc_lo
	s_delay_alu instid0(VALU_DEP_4)
	v_cmp_gt_i32_e32 vcc_lo, 1, v81
	s_or_b32 s22, vcc_lo, s22
	s_waitcnt vmcnt(2) lgkmcnt(2)
	v_dual_mul_f32 v83, v83, v87 :: v_dual_mul_f32 v84, v84, v96
	s_waitcnt vmcnt(0) lgkmcnt(0)
	v_dual_mul_f32 v85, v85, v97 :: v_dual_mul_f32 v86, v86, v98
	s_clause 0x3
	flat_store_b32 v[34:35], v83 glc slc dlc
	flat_store_b32 v[34:35], v84 offset:128 glc slc dlc
	flat_store_b32 v[34:35], v85 offset:256 glc slc dlc
	;; [unrolled: 1-line block ×3, first 2 shown]
	v_add_co_u32 v34, s7, v34, v64
	s_delay_alu instid0(VALU_DEP_1)
	v_add_co_ci_u32_e64 v35, s7, v35, v65, s7
	s_and_not1_b32 exec_lo, exec_lo, s22
	s_cbranch_execnz .LBB4_362
; %bb.363:                              ;   in Loop: Header=BB4_262 Depth=1
	s_set_inst_prefetch_distance 0x2
	s_or_b32 exec_lo, exec_lo, s22
.LBB4_364:                              ;   in Loop: Header=BB4_262 Depth=1
	s_delay_alu instid0(SALU_CYCLE_1) | instskip(SKIP_1) | instid1(VALU_DEP_1)
	s_or_b32 exec_lo, exec_lo, s21
	v_lshlrev_b32_e32 v29, 9, v82
	v_cmp_ne_u32_e32 vcc_lo, v70, v29
	s_and_b32 exec_lo, exec_lo, vcc_lo
	s_cbranch_execz .LBB4_369
; %bb.365:                              ;   in Loop: Header=BB4_262 Depth=1
	v_ashrrev_i32_e32 v30, 31, v80
	v_lshlrev_b32_e32 v32, 5, v81
	s_delay_alu instid0(VALU_DEP_2) | instskip(NEXT) | instid1(VALU_DEP_1)
	v_lshrrev_b32_e32 v30, 27, v30
	v_add_nc_u32_e32 v30, v80, v30
	s_delay_alu instid0(VALU_DEP_1) | instskip(NEXT) | instid1(VALU_DEP_1)
	v_and_b32_e32 v30, 0xffffffe0, v30
	v_sub_nc_u32_e32 v30, v80, v30
	s_delay_alu instid0(VALU_DEP_1) | instskip(NEXT) | instid1(VALU_DEP_1)
	v_sub_nc_u32_e32 v30, v30, v32
	v_ashrrev_i32_e32 v32, 31, v30
	s_delay_alu instid0(VALU_DEP_1) | instskip(NEXT) | instid1(VALU_DEP_1)
	v_lshrrev_b32_e32 v32, 27, v32
	v_add_nc_u32_e32 v32, v30, v32
	s_delay_alu instid0(VALU_DEP_1) | instskip(SKIP_1) | instid1(VALU_DEP_2)
	v_and_b32_e32 v33, 0x3fffffe0, v32
	v_lshlrev_b32_e32 v32, 2, v32
	v_sub_nc_u32_e32 v30, v30, v33
	s_delay_alu instid0(VALU_DEP_2) | instskip(NEXT) | instid1(VALU_DEP_2)
	v_and_b32_e32 v32, 0xffffff80, v32
	v_lshlrev_b32_e32 v30, 2, v30
	s_delay_alu instid0(VALU_DEP_1) | instskip(NEXT) | instid1(VALU_DEP_1)
	v_add3_u32 v29, v32, v30, v29
	v_sub_nc_u32_e32 v70, v70, v29
	s_delay_alu instid0(VALU_DEP_1)
	v_cmp_lt_i32_e32 vcc_lo, 3, v70
	s_and_b32 exec_lo, exec_lo, vcc_lo
	s_cbranch_execz .LBB4_369
; %bb.366:                              ;   in Loop: Header=BB4_262 Depth=1
	s_cbranch_execnz .LBB4_902
; %bb.367:                              ;   in Loop: Header=BB4_262 Depth=1
	ds_load_b128 v[32:35], v0
	ds_load_b64 v[80:81], v0
	v_add_nc_u32_e32 v71, v29, v71
	s_mov_b32 s21, 0
	s_delay_alu instid0(VALU_DEP_1) | instskip(SKIP_2) | instid1(VALU_DEP_2)
	v_ashrrev_i32_e32 v82, 31, v71
	s_waitcnt lgkmcnt(1)
	v_add_co_u32 v29, vcc_lo, v32, v71
	v_add_co_ci_u32_e32 v30, vcc_lo, v33, v82, vcc_lo
	v_add_co_u32 v32, vcc_lo, v34, v71
	v_add_co_ci_u32_e32 v33, vcc_lo, v35, v82, vcc_lo
	s_waitcnt lgkmcnt(0)
	v_add_co_u32 v34, vcc_lo, v80, v71
	v_add_co_ci_u32_e32 v35, vcc_lo, v81, v82, vcc_lo
.LBB4_368:                              ;   Parent Loop BB4_262 Depth=1
                                        ; =>  This Inner Loop Header: Depth=2
	flat_load_b32 v71, v[29:30] slc dlc
	flat_load_b32 v80, v[32:33] slc dlc
	v_add_co_u32 v29, vcc_lo, v29, v66
	v_sub_nc_u32_e32 v70, v70, v50
	v_add_co_ci_u32_e32 v30, vcc_lo, v30, v67, vcc_lo
	v_add_co_u32 v32, vcc_lo, v32, v66
	v_add_co_ci_u32_e32 v33, vcc_lo, v33, v67, vcc_lo
	s_delay_alu instid0(VALU_DEP_4)
	v_cmp_gt_i32_e32 vcc_lo, 4, v70
	s_or_b32 s21, vcc_lo, s21
	s_waitcnt vmcnt(0) lgkmcnt(0)
	v_mul_f32_e32 v71, v71, v80
	flat_store_b32 v[34:35], v71 glc slc dlc
	v_add_co_u32 v34, s7, v34, v66
	s_delay_alu instid0(VALU_DEP_1)
	v_add_co_ci_u32_e64 v35, s7, v35, v67, s7
	s_and_not1_b32 exec_lo, exec_lo, s21
	s_cbranch_execnz .LBB4_368
.LBB4_369:                              ;   in Loop: Header=BB4_262 Depth=1
	s_or_b32 exec_lo, exec_lo, s10
	v_cmp_ne_u32_e64 s7, 0, v22
.LBB4_370:                              ;   in Loop: Header=BB4_262 Depth=1
	s_and_saveexec_b32 s10, s2
	s_cbranch_execz .LBB4_392
; %bb.371:                              ;   in Loop: Header=BB4_262 Depth=1
	s_and_saveexec_b32 s21, s3
	s_delay_alu instid0(SALU_CYCLE_1)
	s_xor_b32 s21, exec_lo, s21
	s_cbranch_execz .LBB4_389
; %bb.372:                              ;   in Loop: Header=BB4_262 Depth=1
	s_and_saveexec_b32 s22, s4
	s_cbranch_execz .LBB4_388
; %bb.373:                              ;   in Loop: Header=BB4_262 Depth=1
	s_mov_b32 s24, exec_lo
	s_mov_b32 s23, exec_lo
	v_mbcnt_lo_u32_b32 v22, s24, 0
	s_waitcnt lgkmcnt(0)
	s_waitcnt_vscnt null, 0x0
	buffer_gl1_inv
	buffer_gl0_inv
	v_cmpx_eq_u32_e32 0, v22
	s_cbranch_execz .LBB4_375
; %bb.374:                              ;   in Loop: Header=BB4_262 Depth=1
	s_bcnt1_i32_b32 s24, s24
	s_delay_alu instid0(SALU_CYCLE_1)
	v_mov_b32_e32 v22, s24
	ds_add_u64 v0, v[22:23]
	s_cbranch_execnz .LBB4_890
.LBB4_375:                              ;   in Loop: Header=BB4_262 Depth=1
	s_or_b32 exec_lo, exec_lo, s23
	s_cbranch_execnz .LBB4_868
; %bb.376:                              ;   in Loop: Header=BB4_262 Depth=1
	ds_load_b64 v[29:30], v0
	v_add_co_u32 v10, vcc_lo, v10, v36
	v_add_co_ci_u32_e32 v11, vcc_lo, 0, v11, vcc_lo
	s_mov_b32 s23, exec_lo
	s_waitcnt lgkmcnt(0)
	s_delay_alu instid0(VALU_DEP_1)
	v_cmpx_lt_u64_e64 v[29:30], v[10:11]
	s_cbranch_execz .LBB4_387
; %bb.377:                              ;   in Loop: Header=BB4_262 Depth=1
	s_mov_b32 s24, 0
	s_mov_b32 s27, 0
                                        ; implicit-def: $sgpr25
                                        ; implicit-def: $sgpr26
	s_branch .LBB4_379
.LBB4_378:                              ;   in Loop: Header=BB4_379 Depth=2
	s_or_b32 exec_lo, exec_lo, vcc_hi
	s_delay_alu instid0(SALU_CYCLE_1) | instskip(NEXT) | instid1(SALU_CYCLE_1)
	s_and_b32 s28, exec_lo, s29
	s_or_b32 s24, s28, s24
	s_and_not1_b32 s25, s25, exec_lo
	s_and_b32 s28, s26, exec_lo
	s_delay_alu instid0(SALU_CYCLE_1)
	s_or_b32 s25, s25, s28
	s_and_not1_b32 exec_lo, exec_lo, s24
	s_cbranch_execz .LBB4_385
.LBB4_379:                              ;   Parent Loop BB4_262 Depth=1
                                        ; =>  This Inner Loop Header: Depth=2
	s_add_i32 s27, s27, 1
                                        ; implicit-def: $sgpr29
	s_delay_alu instid0(SALU_CYCLE_1) | instskip(SKIP_1) | instid1(SALU_CYCLE_1)
	s_cmpk_lg_i32 s27, 0x2710
	s_cselect_b32 s28, -1, 0
	s_and_b32 vcc_lo, exec_lo, s28
	s_cbranch_vccz .LBB4_383
.LBB4_380:                              ;   in Loop: Header=BB4_379 Depth=2
	s_and_not1_b32 s26, s26, exec_lo
	s_and_b32 vcc_lo, s29, exec_lo
	s_mov_b32 s29, -1
	s_or_b32 s26, s26, vcc_lo
	s_and_saveexec_b32 vcc_hi, s28
	s_cbranch_execz .LBB4_378
; %bb.381:                              ;   in Loop: Header=BB4_379 Depth=2
	s_sleep 1
	s_cbranch_execnz .LBB4_912
; %bb.382:                              ;   in Loop: Header=BB4_379 Depth=2
	ds_load_b64 v[29:30], v0
	s_and_not1_b32 s26, s26, exec_lo
	s_waitcnt lgkmcnt(0)
	v_cmp_ge_u64_e32 vcc_lo, v[29:30], v[10:11]
	s_or_not1_b32 s29, vcc_lo, exec_lo
	s_branch .LBB4_378
.LBB4_383:                              ;   in Loop: Header=BB4_379 Depth=2
	s_cbranch_execnz .LBB4_918
; %bb.384:                              ;   in Loop: Header=BB4_379 Depth=2
	ds_load_b64 v[29:30], v0
	s_and_not1_b32 s28, s28, exec_lo
	s_mov_b32 s27, 0
	s_mov_b32 s29, -1
	s_waitcnt lgkmcnt(0)
	flat_load_b32 v22, v[29:30] glc
	s_waitcnt vmcnt(0) lgkmcnt(0)
	buffer_gl1_inv
	buffer_gl0_inv
	v_cmp_eq_u32_e32 vcc_lo, 0, v22
	s_and_b32 vcc_lo, vcc_lo, exec_lo
	s_delay_alu instid0(SALU_CYCLE_1)
	s_or_b32 s28, s28, vcc_lo
	s_branch .LBB4_380
.LBB4_385:                              ;   in Loop: Header=BB4_262 Depth=1
	s_or_b32 exec_lo, exec_lo, s24
	s_and_saveexec_b32 s24, s25
	s_delay_alu instid0(SALU_CYCLE_1)
	s_xor_b32 s24, exec_lo, s24
	s_cbranch_execz .LBB4_387
; %bb.386:                              ;   in Loop: Header=BB4_262 Depth=1
	ds_store_b32 v0, v68
	s_cbranch_execnz .LBB4_942
.LBB4_387:                              ;   in Loop: Header=BB4_262 Depth=1
	s_or_b32 exec_lo, exec_lo, s23
	;;#ASMSTART
	s_wakeup
	;;#ASMEND
.LBB4_388:                              ;   in Loop: Header=BB4_262 Depth=1
	s_or_b32 exec_lo, exec_lo, s22
.LBB4_389:                              ;   in Loop: Header=BB4_262 Depth=1
	s_and_not1_saveexec_b32 s21, s21
	s_cbranch_execz .LBB4_391
; %bb.390:                              ;   in Loop: Header=BB4_262 Depth=1
	s_waitcnt lgkmcnt(0)
	s_waitcnt_vscnt null, 0x0
	buffer_gl1_inv
	buffer_gl0_inv
	s_barrier
.LBB4_391:                              ;   in Loop: Header=BB4_262 Depth=1
	s_or_b32 exec_lo, exec_lo, s21
.LBB4_392:                              ;   in Loop: Header=BB4_262 Depth=1
	s_delay_alu instid0(SALU_CYCLE_1) | instskip(SKIP_1) | instid1(VALU_DEP_1)
	s_or_b32 exec_lo, exec_lo, s10
	v_and_b32_e32 v22, 16, v38
	v_cmp_ne_u32_e32 vcc_lo, 0, v22
	s_and_b32 s10, vcc_lo, s7
	s_delay_alu instid0(SALU_CYCLE_1)
	s_and_saveexec_b32 s7, s10
	s_cbranch_execz .LBB4_394
; %bb.393:                              ;   in Loop: Header=BB4_262 Depth=1
	s_waitcnt lgkmcnt(0)
	s_waitcnt_vscnt null, 0x0
	buffer_gl1_inv
	buffer_gl0_inv
.LBB4_394:                              ;   in Loop: Header=BB4_262 Depth=1
	s_or_b32 exec_lo, exec_lo, s7
	v_and_b32_e32 v22, 32, v38
	s_mov_b32 s7, exec_lo
	s_delay_alu instid0(VALU_DEP_1)
	v_cmpx_ne_u32_e32 0, v22
	s_cbranch_execz .LBB4_396
; %bb.395:                              ;   in Loop: Header=BB4_262 Depth=1
	v_add_co_u32 v8, vcc_lo, v8, 1
	v_add_co_ci_u32_e32 v9, vcc_lo, 0, v9, vcc_lo
	s_waitcnt lgkmcnt(0)
	s_waitcnt_vscnt null, 0x0
	flat_store_b64 v[16:17], v[8:9]
.LBB4_396:                              ;   in Loop: Header=BB4_262 Depth=1
	s_or_b32 exec_lo, exec_lo, s7
	v_mov_b32_e32 v34, v69
.LBB4_397:                              ;   in Loop: Header=BB4_262 Depth=1
	s_or_b32 exec_lo, exec_lo, s20
	s_and_saveexec_b32 s10, s19
	s_cbranch_execz .LBB4_450
; %bb.398:                              ;   in Loop: Header=BB4_262 Depth=1
	v_and_b32_e32 v22, 4, v38
	s_mov_b32 s19, -1
	s_mov_b32 s7, exec_lo
	s_delay_alu instid0(VALU_DEP_1)
	v_cmpx_ne_u32_e32 0, v22
	s_cbranch_execz .LBB4_412
; %bb.399:                              ;   in Loop: Header=BB4_262 Depth=1
	v_add_co_u32 v29, vcc_lo, v8, 1
	v_add_co_ci_u32_e32 v30, vcc_lo, 0, v9, vcc_lo
	v_mov_b32_e32 v22, 1
	s_mov_b32 s19, exec_lo
	s_delay_alu instid0(VALU_DEP_2)
	v_cmpx_lt_u64_e64 v[20:21], v[29:30]
	s_cbranch_execz .LBB4_411
; %bb.400:                              ;   in Loop: Header=BB4_262 Depth=1
	v_mov_b32_e32 v22, 0
	s_mov_b32 s20, 0
                                        ; implicit-def: $sgpr21
	s_branch .LBB4_404
.LBB4_401:                              ;   in Loop: Header=BB4_404 Depth=2
	s_or_b32 exec_lo, exec_lo, s25
	v_mov_b32_e32 v32, 0
	s_or_not1_b32 s24, s24, exec_lo
.LBB4_402:                              ;   in Loop: Header=BB4_404 Depth=2
	s_or_b32 exec_lo, exec_lo, s23
	s_delay_alu instid0(VALU_DEP_1) | instskip(SKIP_2) | instid1(SALU_CYCLE_1)
	v_mov_b32_e32 v22, v32
	s_and_not1_b32 s21, s21, exec_lo
	s_and_b32 s23, s24, exec_lo
	s_or_b32 s21, s21, s23
.LBB4_403:                              ;   in Loop: Header=BB4_404 Depth=2
	s_or_b32 exec_lo, exec_lo, s22
	s_waitcnt vmcnt(0) lgkmcnt(0)
	v_cmp_ge_u64_e32 vcc_lo, v[20:21], v[29:30]
	s_xor_b32 s22, s21, -1
	s_delay_alu instid0(SALU_CYCLE_1) | instskip(NEXT) | instid1(SALU_CYCLE_1)
	s_or_b32 s22, s22, vcc_lo
	s_and_b32 s22, exec_lo, s22
	s_delay_alu instid0(SALU_CYCLE_1) | instskip(NEXT) | instid1(SALU_CYCLE_1)
	s_or_b32 s20, s22, s20
	s_and_not1_b32 exec_lo, exec_lo, s20
	s_cbranch_execz .LBB4_410
.LBB4_404:                              ;   Parent Loop BB4_262 Depth=1
                                        ; =>  This Inner Loop Header: Depth=2
	s_sleep 1
	flat_load_b64 v[20:21], v[16:17] glc
	v_and_b32_e32 v32, 64, v38
	s_and_not1_b32 s21, s21, exec_lo
	s_mov_b32 s22, exec_lo
	s_delay_alu instid0(VALU_DEP_1)
	v_cmpx_eq_u32_e32 0, v32
	s_cbranch_execz .LBB4_403
; %bb.405:                              ;   in Loop: Header=BB4_404 Depth=2
	v_add_nc_u32_e32 v32, 1, v22
	s_mov_b32 s24, -1
	s_mov_b32 s23, exec_lo
	v_cmpx_lt_i32_e32 0x270e, v22
	s_cbranch_execz .LBB4_402
; %bb.406:                              ;   in Loop: Header=BB4_404 Depth=2
	s_cbranch_execnz .LBB4_772
; %bb.407:                              ;   in Loop: Header=BB4_404 Depth=2
	ds_load_b64 v[32:33], v0
	s_mov_b32 s25, exec_lo
	s_waitcnt vmcnt(0) lgkmcnt(0)
	s_waitcnt_vscnt null, 0x0
	flat_load_b32 v22, v[32:33] glc
	s_waitcnt vmcnt(0) lgkmcnt(0)
	buffer_gl1_inv
	buffer_gl0_inv
	v_cmpx_ne_u32_e32 0, v22
	s_cbranch_execz .LBB4_401
; %bb.408:                              ;   in Loop: Header=BB4_404 Depth=2
	ds_store_b32 v0, v22
	s_cbranch_execnz .LBB4_802
; %bb.409:                              ;   in Loop: Header=BB4_404 Depth=2
	v_or_b32_e32 v38, 64, v38
	s_xor_b32 s24, exec_lo, -1
	s_branch .LBB4_401
.LBB4_410:                              ;   in Loop: Header=BB4_262 Depth=1
	s_or_b32 exec_lo, exec_lo, s20
	v_and_b32_e32 v22, 4, v38
.LBB4_411:                              ;   in Loop: Header=BB4_262 Depth=1
	s_or_b32 exec_lo, exec_lo, s19
	s_delay_alu instid0(VALU_DEP_1)
	v_cmp_eq_u32_e32 vcc_lo, 0, v22
	;;#ASMSTART
	s_wakeup
	;;#ASMEND
	s_or_not1_b32 s19, vcc_lo, exec_lo
.LBB4_412:                              ;   in Loop: Header=BB4_262 Depth=1
	s_or_b32 exec_lo, exec_lo, s7
	s_xor_b32 s7, s19, -1
	s_delay_alu instid0(SALU_CYCLE_1)
	s_and_saveexec_b32 s19, s7
	s_cbranch_execz .LBB4_422
; %bb.413:                              ;   in Loop: Header=BB4_262 Depth=1
	v_and_b32_e32 v22, 0x100, v38
	s_mov_b32 s7, -1
                                        ; implicit-def: $vgpr29_vgpr30
	s_delay_alu instid0(VALU_DEP_1)
	v_cmp_ne_u32_e32 vcc_lo, 0, v22
	v_and_b32_e32 v22, 7, v8
	s_and_saveexec_b32 s20, vcc_lo
	s_cbranch_execz .LBB4_417
; %bb.414:                              ;   in Loop: Header=BB4_262 Depth=1
	s_delay_alu instid0(VALU_DEP_1) | instskip(SKIP_4) | instid1(VALU_DEP_1)
	v_mad_u64_u32 v[32:33], null, v22, 24, v[6:7]
	flat_load_b32 v29, v[32:33]
	s_waitcnt vmcnt(0) lgkmcnt(0)
	v_cmp_ne_u32_e32 vcc_lo, 1, v29
	v_cmp_eq_u32_e64 s7, 1, v29
                                        ; implicit-def: $vgpr29_vgpr30
	s_and_saveexec_b32 s21, s7
	s_cbranch_execz .LBB4_416
; %bb.415:                              ;   in Loop: Header=BB4_262 Depth=1
	flat_load_b32 v29, v[32:33] offset:4 glc
	s_waitcnt vmcnt(0) lgkmcnt(0)
	v_ashrrev_i32_e32 v30, 31, v29
	s_delay_alu instid0(VALU_DEP_1)
	v_lshrrev_b64 v[29:30], 2, v[29:30]
.LBB4_416:                              ;   in Loop: Header=BB4_262 Depth=1
	s_or_b32 exec_lo, exec_lo, s21
	s_delay_alu instid0(SALU_CYCLE_1)
	s_or_not1_b32 s7, vcc_lo, exec_lo
.LBB4_417:                              ;   in Loop: Header=BB4_262 Depth=1
	s_or_b32 exec_lo, exec_lo, s20
	s_and_saveexec_b32 s20, s7
; %bb.418:                              ;   in Loop: Header=BB4_262 Depth=1
	v_mad_i64_i32 v[29:30], null, v22, v48, 0
; %bb.419:                              ;   in Loop: Header=BB4_262 Depth=1
	s_or_b32 exec_lo, exec_lo, s20
	s_delay_alu instid0(VALU_DEP_1) | instskip(SKIP_2) | instid1(VALU_DEP_2)
	v_lshlrev_b64 v[29:30], 2, v[29:30]
	v_and_b32_e32 v22, 0x2000, v38
	s_mov_b32 s7, exec_lo
	v_add_co_u32 v29, vcc_lo, v18, v29
	s_delay_alu instid0(VALU_DEP_3)
	v_add_co_ci_u32_e32 v30, vcc_lo, v19, v30, vcc_lo
	ds_store_b64 v0, v[29:30] offset:728
	v_cmpx_ne_u32_e32 0, v22
	s_cbranch_execz .LBB4_421
; %bb.420:                              ;   in Loop: Header=BB4_262 Depth=1
	ds_load_b64 v[29:30], v0 offset:584
	s_waitcnt lgkmcnt(0)
	v_add_co_u32 v29, vcc_lo, v29, 1
	v_add_co_ci_u32_e32 v30, vcc_lo, 0, v30, vcc_lo
	ds_store_b64 v0, v[29:30] offset:584
.LBB4_421:                              ;   in Loop: Header=BB4_262 Depth=1
	s_or_b32 exec_lo, exec_lo, s7
	v_add_co_u32 v8, vcc_lo, v8, 1
	v_add_co_ci_u32_e32 v9, vcc_lo, 0, v9, vcc_lo
.LBB4_422:                              ;   in Loop: Header=BB4_262 Depth=1
	s_or_b32 exec_lo, exec_lo, s19
	s_and_saveexec_b32 s7, s2
	s_cbranch_execz .LBB4_444
; %bb.423:                              ;   in Loop: Header=BB4_262 Depth=1
	s_and_saveexec_b32 s19, s3
	s_delay_alu instid0(SALU_CYCLE_1)
	s_xor_b32 s19, exec_lo, s19
	s_cbranch_execz .LBB4_441
; %bb.424:                              ;   in Loop: Header=BB4_262 Depth=1
	s_and_saveexec_b32 s20, s4
	s_cbranch_execz .LBB4_440
; %bb.425:                              ;   in Loop: Header=BB4_262 Depth=1
	s_mov_b32 s22, exec_lo
	s_mov_b32 s21, exec_lo
	v_mbcnt_lo_u32_b32 v22, s22, 0
	s_waitcnt lgkmcnt(0)
	s_waitcnt_vscnt null, 0x0
	buffer_gl1_inv
	buffer_gl0_inv
	v_cmpx_eq_u32_e32 0, v22
	s_cbranch_execz .LBB4_427
; %bb.426:                              ;   in Loop: Header=BB4_262 Depth=1
	s_bcnt1_i32_b32 s22, s22
	s_delay_alu instid0(SALU_CYCLE_1)
	v_mov_b32_e32 v22, s22
	ds_add_u64 v0, v[22:23]
	s_cbranch_execnz .LBB4_818
.LBB4_427:                              ;   in Loop: Header=BB4_262 Depth=1
	s_or_b32 exec_lo, exec_lo, s21
	s_cbranch_execnz .LBB4_804
; %bb.428:                              ;   in Loop: Header=BB4_262 Depth=1
	ds_load_b64 v[29:30], v0
	v_add_co_u32 v10, vcc_lo, v10, v36
	v_add_co_ci_u32_e32 v11, vcc_lo, 0, v11, vcc_lo
	s_mov_b32 s21, exec_lo
	s_waitcnt lgkmcnt(0)
	s_delay_alu instid0(VALU_DEP_1)
	v_cmpx_lt_u64_e64 v[29:30], v[10:11]
	s_cbranch_execz .LBB4_439
; %bb.429:                              ;   in Loop: Header=BB4_262 Depth=1
	s_mov_b32 s22, 0
	s_mov_b32 s25, 0
                                        ; implicit-def: $sgpr23
                                        ; implicit-def: $sgpr24
	s_branch .LBB4_431
.LBB4_430:                              ;   in Loop: Header=BB4_431 Depth=2
	s_or_b32 exec_lo, exec_lo, s28
	s_delay_alu instid0(SALU_CYCLE_1) | instskip(NEXT) | instid1(SALU_CYCLE_1)
	s_and_b32 s26, exec_lo, s27
	s_or_b32 s22, s26, s22
	s_and_not1_b32 s23, s23, exec_lo
	s_and_b32 s26, s24, exec_lo
	s_delay_alu instid0(SALU_CYCLE_1)
	s_or_b32 s23, s23, s26
	s_and_not1_b32 exec_lo, exec_lo, s22
	s_cbranch_execz .LBB4_437
.LBB4_431:                              ;   Parent Loop BB4_262 Depth=1
                                        ; =>  This Inner Loop Header: Depth=2
	s_add_i32 s25, s25, 1
                                        ; implicit-def: $sgpr27
	s_delay_alu instid0(SALU_CYCLE_1) | instskip(SKIP_1) | instid1(SALU_CYCLE_1)
	s_cmpk_lg_i32 s25, 0x2710
	s_cselect_b32 s26, -1, 0
	s_and_b32 vcc_lo, exec_lo, s26
	s_cbranch_vccz .LBB4_435
.LBB4_432:                              ;   in Loop: Header=BB4_431 Depth=2
	s_and_not1_b32 s24, s24, exec_lo
	s_and_b32 s28, s27, exec_lo
	s_mov_b32 s27, -1
	s_or_b32 s24, s24, s28
	s_and_saveexec_b32 s28, s26
	s_cbranch_execz .LBB4_430
; %bb.433:                              ;   in Loop: Header=BB4_431 Depth=2
	s_sleep 1
	s_cbranch_execnz .LBB4_862
; %bb.434:                              ;   in Loop: Header=BB4_431 Depth=2
	ds_load_b64 v[29:30], v0
	s_and_not1_b32 s24, s24, exec_lo
	s_waitcnt lgkmcnt(0)
	v_cmp_ge_u64_e32 vcc_lo, v[29:30], v[10:11]
	s_or_not1_b32 s27, vcc_lo, exec_lo
	s_branch .LBB4_430
.LBB4_435:                              ;   in Loop: Header=BB4_431 Depth=2
	s_cbranch_execnz .LBB4_884
; %bb.436:                              ;   in Loop: Header=BB4_431 Depth=2
	ds_load_b64 v[29:30], v0
	s_and_not1_b32 s26, s26, exec_lo
	s_mov_b32 s25, 0
	s_mov_b32 s27, -1
	s_waitcnt lgkmcnt(0)
	flat_load_b32 v22, v[29:30] glc
	s_waitcnt vmcnt(0) lgkmcnt(0)
	buffer_gl1_inv
	buffer_gl0_inv
	v_cmp_eq_u32_e32 vcc_lo, 0, v22
	s_and_b32 s28, vcc_lo, exec_lo
	s_delay_alu instid0(SALU_CYCLE_1)
	s_or_b32 s26, s26, s28
	s_branch .LBB4_432
.LBB4_437:                              ;   in Loop: Header=BB4_262 Depth=1
	s_or_b32 exec_lo, exec_lo, s22
	s_and_saveexec_b32 s22, s23
	s_delay_alu instid0(SALU_CYCLE_1)
	s_xor_b32 s22, exec_lo, s22
	s_cbranch_execz .LBB4_439
; %bb.438:                              ;   in Loop: Header=BB4_262 Depth=1
	ds_store_b32 v0, v68
	s_cbranch_execnz .LBB4_932
.LBB4_439:                              ;   in Loop: Header=BB4_262 Depth=1
	s_or_b32 exec_lo, exec_lo, s21
	;;#ASMSTART
	s_wakeup
	;;#ASMEND
.LBB4_440:                              ;   in Loop: Header=BB4_262 Depth=1
	s_or_b32 exec_lo, exec_lo, s20
.LBB4_441:                              ;   in Loop: Header=BB4_262 Depth=1
	s_and_not1_saveexec_b32 s19, s19
	s_cbranch_execz .LBB4_443
; %bb.442:                              ;   in Loop: Header=BB4_262 Depth=1
	s_waitcnt lgkmcnt(0)
	s_waitcnt_vscnt null, 0x0
	buffer_gl1_inv
	buffer_gl0_inv
	s_barrier
.LBB4_443:                              ;   in Loop: Header=BB4_262 Depth=1
	s_or_b32 exec_lo, exec_lo, s19
.LBB4_444:                              ;   in Loop: Header=BB4_262 Depth=1
	s_delay_alu instid0(SALU_CYCLE_1)
	s_or_b32 exec_lo, exec_lo, s7
	s_cbranch_execnz .LBB4_743
; %bb.445:                              ;   in Loop: Header=BB4_262 Depth=1
	ds_load_b32 v22, v0
	v_sub_nc_u32_e32 v28, v28, v34
	s_delay_alu instid0(VALU_DEP_1) | instskip(NEXT) | instid1(VALU_DEP_1)
	v_min_i32_e32 v28, v69, v28
	v_cmp_lt_i32_e32 vcc_lo, 0, v28
	s_waitcnt lgkmcnt(0)
	v_readfirstlane_b32 s7, v22
	v_and_b32_e32 v22, 16, v38
	s_delay_alu instid0(VALU_DEP_2) | instskip(NEXT) | instid1(VALU_DEP_1)
	s_cmp_eq_u32 s7, 0
	v_cmp_ne_u32_e64 s7, 0, v22
	s_cselect_b32 s19, -1, 0
	s_delay_alu instid0(SALU_CYCLE_1)
	s_and_b32 s19, vcc_lo, s19
	s_delay_alu instid0(VALU_DEP_1) | instid1(SALU_CYCLE_1)
	s_and_b32 s19, s7, s19
	s_delay_alu instid0(SALU_CYCLE_1)
	s_and_saveexec_b32 s7, s19
	s_cbranch_execz .LBB4_447
; %bb.446:                              ;   in Loop: Header=BB4_262 Depth=1
	s_waitcnt_vscnt null, 0x0
	buffer_gl1_inv
	buffer_gl0_inv
.LBB4_447:                              ;   in Loop: Header=BB4_262 Depth=1
	s_or_b32 exec_lo, exec_lo, s7
	v_and_b32_e32 v22, 32, v38
	s_mov_b32 s7, exec_lo
	s_delay_alu instid0(VALU_DEP_1)
	v_cmpx_ne_u32_e32 0, v22
	s_cbranch_execz .LBB4_449
; %bb.448:                              ;   in Loop: Header=BB4_262 Depth=1
	v_add_co_u32 v8, vcc_lo, v8, 1
	v_add_co_ci_u32_e32 v9, vcc_lo, 0, v9, vcc_lo
	s_waitcnt_vscnt null, 0x0
	flat_store_b64 v[16:17], v[8:9]
.LBB4_449:                              ;   in Loop: Header=BB4_262 Depth=1
	s_or_b32 exec_lo, exec_lo, s7
.LBB4_450:                              ;   in Loop: Header=BB4_262 Depth=1
	s_delay_alu instid0(SALU_CYCLE_1) | instskip(SKIP_2) | instid1(VALU_DEP_1)
	s_or_b32 exec_lo, exec_lo, s10
	v_add_co_u32 v26, vcc_lo, v26, v12
	v_add_co_ci_u32_e32 v27, vcc_lo, 0, v27, vcc_lo
	v_cmp_ge_u64_e32 vcc_lo, v[26:27], v[4:5]
	s_or_b32 s16, vcc_lo, s16
	s_delay_alu instid0(SALU_CYCLE_1)
	s_and_not1_b32 exec_lo, exec_lo, s16
	s_cbranch_execnz .LBB4_262
; %bb.451:
	s_or_b32 exec_lo, exec_lo, s16
.LBB4_452:
	s_delay_alu instid0(SALU_CYCLE_1)
	s_or_b32 exec_lo, exec_lo, s12
.LBB4_453:
	s_delay_alu instid0(SALU_CYCLE_1)
	s_or_b32 exec_lo, exec_lo, s11
                                        ; implicit-def: $vgpr24_vgpr25
                                        ; implicit-def: $vgpr4_vgpr5
                                        ; implicit-def: $vgpr22_vgpr23
                                        ; implicit-def: $vgpr48
                                        ; implicit-def: $vgpr20_vgpr21
                                        ; implicit-def: $vgpr18_vgpr19
                                        ; implicit-def: $vgpr16_vgpr17
                                        ; implicit-def: $vgpr0
                                        ; implicit-def: $vgpr30
                                        ; implicit-def: $vgpr12_vgpr13
.LBB4_454:
	s_and_not1_saveexec_b32 s12, s15
	s_cbranch_execz .LBB4_655
; %bb.455:
	v_mov_b32_e32 v10, 0
	v_mov_b32_e32 v11, 0
	s_mov_b32 s15, exec_lo
	v_cmpx_ne_u64_e32 0, v[4:5]
	s_cbranch_execz .LBB4_654
; %bb.456:
	v_cmp_ge_i32_e64 s1, v0, v1
	s_cbranch_execnz .LBB4_684
; %bb.457:
	v_ashrrev_i32_e32 v10, 31, v0
	v_lshrrev_b32_e32 v50, 5, v1
	v_dual_mov_b32 v26, 0 :: v_dual_and_b32 v11, 31, v31
	s_lshr_b32 s4, s14, 27
	s_delay_alu instid0(VALU_DEP_3) | instskip(NEXT) | instid1(VALU_DEP_3)
	v_lshrrev_b32_e32 v10, 27, v10
	v_dual_mov_b32 v71, 1 :: v_dual_lshlrev_b32 v52, 9, v50
	s_add_i32 s14, s14, s4
	v_cmp_eq_u32_e64 s4, 0, v11
	s_delay_alu instid0(VALU_DEP_3) | instskip(NEXT) | instid1(VALU_DEP_3)
	v_add_nc_u32_e32 v10, v0, v10
	v_add_nc_u32_e32 v28, 0xfffffe00, v52
	v_cmp_eq_u32_e32 vcc_lo, 32, v1
	v_ashrrev_i32_e32 v49, 31, v48
	v_cmp_ne_u32_e64 s2, 32, v1
	v_and_b32_e32 v27, 0xffffffe0, v10
	v_ashrrev_i32_e32 v51, 5, v10
	v_lshl_add_u32 v10, v50, 11, 0xfffff800
	v_add_co_u32 v67, s7, 0x200, v28
	s_delay_alu instid0(VALU_DEP_4) | instskip(NEXT) | instid1(VALU_DEP_4)
	v_sub_nc_u32_e32 v53, v0, v27
	v_lshlrev_b32_e32 v27, 11, v51
	s_delay_alu instid0(VALU_DEP_4) | instskip(SKIP_2) | instid1(VALU_DEP_4)
	v_ashrrev_i32_e32 v11, 31, v10
	v_add_co_u32 v64, s5, 0x800, v10
	v_ashrrev_i32_e32 v10, 31, v28
	v_lshl_add_u32 v55, v53, 4, v27
	v_mov_b32_e32 v27, 0
	v_mov_b32_e32 v28, 0
	v_lshlrev_b32_e32 v54, 7, v50
	v_add_co_ci_u32_e64 v65, s5, 0, v11, s5
	v_add_co_ci_u32_e64 v68, s7, 0, v10, s7
	s_delay_alu instid0(VALU_DEP_3)
	v_add_nc_u32_e32 v11, 0xffffff80, v54
	v_cmp_lt_i32_e64 s6, v53, v30
	v_lshlrev_b64 v[29:30], 2, v[24:25]
	v_cmp_ne_u32_e64 s3, v39, v1
	v_cmp_gt_i32_e64 s5, 1, v53
	v_ashrrev_i32_e32 v10, 31, v11
	v_add_co_u32 v69, s7, 0x80, v11
	v_ashrrev_i32_e32 v66, 31, v55
	s_ashr_i32 s16, s14, 5
	s_delay_alu instid0(VALU_DEP_3)
	v_add_co_ci_u32_e64 v70, s7, 0, v10, s7
	s_waitcnt lgkmcnt(2)
	v_cmp_ne_u64_e64 s7, 0, v[22:23]
	v_dual_mov_b32 v10, v27 :: v_dual_mov_b32 v11, v28
	s_mov_b32 s14, 0
	s_xor_b32 s17, vcc_lo, -1
.LBB4_458:                              ; =>This Loop Header: Depth=1
                                        ;     Child Loop BB4_468 Depth 2
                                        ;     Child Loop BB4_495 Depth 2
	;; [unrolled: 1-line block ×10, first 2 shown]
	v_sub_co_u32 v24, vcc_lo, v4, v27
	v_sub_co_ci_u32_e32 v25, vcc_lo, v5, v28, vcc_lo
	s_delay_alu instid0(VALU_DEP_1) | instskip(SKIP_2) | instid1(VALU_DEP_1)
	v_cmp_lt_u64_e32 vcc_lo, v[12:13], v[24:25]
	v_cndmask_b32_e64 v25, v25, 0, vcc_lo
	v_cndmask_b32_e32 v24, v24, v12, vcc_lo
	v_cmp_eq_u64_e32 vcc_lo, 0, v[24:25]
	v_dual_mov_b32 v25, 0 :: v_dual_add_nc_u32 v32, 15, v24
	s_or_b32 s18, s1, vcc_lo
	s_delay_alu instid0(VALU_DEP_1) | instskip(SKIP_1) | instid1(VALU_DEP_1)
	v_and_b32_e32 v32, 0x1ffffff0, v32
	s_xor_b32 s10, s18, -1
	v_max_i32_e32 v36, s16, v32
	s_and_saveexec_b32 s19, s10
	s_cbranch_execz .LBB4_595
; %bb.459:                              ;   in Loop: Header=BB4_458 Depth=1
	s_and_saveexec_b32 s10, s0
	s_cbranch_execz .LBB4_462
; %bb.460:                              ;   in Loop: Header=BB4_458 Depth=1
	s_cbranch_execnz .LBB4_725
; %bb.461:                              ;   in Loop: Header=BB4_458 Depth=1
	ds_load_b64 v[32:33], v0
	s_waitcnt lgkmcnt(1)
	v_lshlrev_b64 v[34:35], 2, v[27:28]
	s_waitcnt lgkmcnt(0)
	v_add_co_u32 v25, vcc_lo, v32, v29
	v_add_co_ci_u32_e32 v33, vcc_lo, v33, v30, vcc_lo
	s_delay_alu instid0(VALU_DEP_2) | instskip(NEXT) | instid1(VALU_DEP_2)
	v_add_co_u32 v32, vcc_lo, v25, v34
	v_add_co_ci_u32_e32 v33, vcc_lo, v33, v35, vcc_lo
	v_mov_b32_e32 v25, v26
	ds_store_b64 v0, v[32:33]
	ds_store_b64 v0, v[25:26]
.LBB4_462:                              ;   in Loop: Header=BB4_458 Depth=1
	s_or_b32 exec_lo, exec_lo, s10
	v_and_b32_e32 v25, 8, v38
	s_mov_b32 s11, -1
	s_mov_b32 s10, exec_lo
	s_delay_alu instid0(VALU_DEP_1)
	v_cmpx_ne_u32_e32 0, v25
	s_cbranch_execz .LBB4_476
; %bb.463:                              ;   in Loop: Header=BB4_458 Depth=1
	s_waitcnt lgkmcnt(0)
	v_add_co_u32 v34, vcc_lo, v20, 8
	v_add_co_ci_u32_e32 v35, vcc_lo, 0, v21, vcc_lo
	v_add_co_u32 v32, vcc_lo, v8, 1
	v_add_co_ci_u32_e32 v33, vcc_lo, 0, v9, vcc_lo
	v_mov_b32_e32 v25, 1
	s_mov_b32 s11, exec_lo
	s_delay_alu instid0(VALU_DEP_2)
	v_cmpx_lt_u64_e64 v[34:35], v[32:33]
	s_cbranch_execz .LBB4_475
; %bb.464:                              ;   in Loop: Header=BB4_458 Depth=1
	v_mov_b32_e32 v25, 0
	s_mov_b32 s20, 0
                                        ; implicit-def: $sgpr21
	s_branch .LBB4_468
.LBB4_465:                              ;   in Loop: Header=BB4_468 Depth=2
	s_or_b32 exec_lo, exec_lo, s25
	v_mov_b32_e32 v34, 0
	s_or_not1_b32 s24, s24, exec_lo
.LBB4_466:                              ;   in Loop: Header=BB4_468 Depth=2
	s_or_b32 exec_lo, exec_lo, s23
	s_delay_alu instid0(VALU_DEP_1) | instskip(SKIP_2) | instid1(SALU_CYCLE_1)
	v_mov_b32_e32 v25, v34
	s_and_not1_b32 s21, s21, exec_lo
	s_and_b32 s23, s24, exec_lo
	s_or_b32 s21, s21, s23
.LBB4_467:                              ;   in Loop: Header=BB4_468 Depth=2
	s_or_b32 exec_lo, exec_lo, s22
	s_waitcnt vmcnt(0) lgkmcnt(0)
	v_add_co_u32 v34, vcc_lo, v20, 8
	v_add_co_ci_u32_e32 v35, vcc_lo, 0, v21, vcc_lo
	s_xor_b32 s22, s21, -1
	s_delay_alu instid0(VALU_DEP_1) | instskip(SKIP_1) | instid1(SALU_CYCLE_1)
	v_cmp_ge_u64_e32 vcc_lo, v[34:35], v[32:33]
	s_or_b32 s22, s22, vcc_lo
	s_and_b32 s22, exec_lo, s22
	s_delay_alu instid0(SALU_CYCLE_1) | instskip(NEXT) | instid1(SALU_CYCLE_1)
	s_or_b32 s20, s22, s20
	s_and_not1_b32 exec_lo, exec_lo, s20
	s_cbranch_execz .LBB4_474
.LBB4_468:                              ;   Parent Loop BB4_458 Depth=1
                                        ; =>  This Inner Loop Header: Depth=2
	s_sleep 1
	flat_load_b64 v[20:21], v[16:17] glc
	v_and_b32_e32 v34, 64, v38
	s_and_not1_b32 s21, s21, exec_lo
	s_mov_b32 s22, exec_lo
	s_delay_alu instid0(VALU_DEP_1)
	v_cmpx_eq_u32_e32 0, v34
	s_cbranch_execz .LBB4_467
; %bb.469:                              ;   in Loop: Header=BB4_468 Depth=2
	v_add_nc_u32_e32 v34, 1, v25
	s_mov_b32 s24, -1
	s_mov_b32 s23, exec_lo
	v_cmpx_lt_i32_e32 0x270e, v25
	s_cbranch_execz .LBB4_466
; %bb.470:                              ;   in Loop: Header=BB4_468 Depth=2
	s_cbranch_execnz .LBB4_731
; %bb.471:                              ;   in Loop: Header=BB4_468 Depth=2
	ds_load_b64 v[34:35], v0
	s_mov_b32 s25, exec_lo
	s_waitcnt vmcnt(0) lgkmcnt(0)
	s_waitcnt_vscnt null, 0x0
	flat_load_b32 v25, v[34:35] glc
	s_waitcnt vmcnt(0) lgkmcnt(0)
	buffer_gl1_inv
	buffer_gl0_inv
	v_cmpx_ne_u32_e32 0, v25
	s_cbranch_execz .LBB4_465
; %bb.472:                              ;   in Loop: Header=BB4_468 Depth=2
	ds_store_b32 v0, v25
	s_cbranch_execnz .LBB4_774
; %bb.473:                              ;   in Loop: Header=BB4_468 Depth=2
	v_or_b32_e32 v38, 64, v38
	s_xor_b32 s24, exec_lo, -1
	s_branch .LBB4_465
.LBB4_474:                              ;   in Loop: Header=BB4_458 Depth=1
	s_or_b32 exec_lo, exec_lo, s20
	v_and_b32_e32 v25, 8, v38
.LBB4_475:                              ;   in Loop: Header=BB4_458 Depth=1
	s_or_b32 exec_lo, exec_lo, s11
	s_delay_alu instid0(VALU_DEP_1)
	v_cmp_eq_u32_e32 vcc_lo, 0, v25
	;;#ASMSTART
	s_wakeup
	;;#ASMEND
	s_or_not1_b32 s11, vcc_lo, exec_lo
.LBB4_476:                              ;   in Loop: Header=BB4_458 Depth=1
	s_or_b32 exec_lo, exec_lo, s10
	v_min_u32_e32 v36, v36, v24
	s_xor_b32 s10, s11, -1
	s_delay_alu instid0(SALU_CYCLE_1)
	s_and_saveexec_b32 s11, s10
	s_cbranch_execz .LBB4_486
; %bb.477:                              ;   in Loop: Header=BB4_458 Depth=1
	v_and_b32_e32 v25, 0x100, v38
	s_waitcnt lgkmcnt(0)
	v_and_b32_e32 v37, 7, v8
	s_mov_b32 s10, -1
	s_mov_b32 s20, exec_lo
                                        ; implicit-def: $vgpr32_vgpr33
	v_cmpx_ne_u32_e32 0, v25
	s_cbranch_execz .LBB4_481
; %bb.478:                              ;   in Loop: Header=BB4_458 Depth=1
	v_mad_u64_u32 v[34:35], null, v37, 24, v[6:7]
	v_lshlrev_b32_e32 v25, 2, v36
	flat_load_b32 v32, v[34:35]
	flat_store_b64 v[34:35], v[25:26] offset:8
	s_waitcnt vmcnt(0) lgkmcnt(1)
	v_cmp_ne_u32_e32 vcc_lo, 1, v32
	v_cmp_eq_u32_e64 s10, 1, v32
                                        ; implicit-def: $vgpr32_vgpr33
	s_delay_alu instid0(VALU_DEP_1)
	s_and_saveexec_b32 s21, s10
	s_cbranch_execz .LBB4_480
; %bb.479:                              ;   in Loop: Header=BB4_458 Depth=1
	flat_load_b32 v32, v[34:35] offset:4 glc
	s_waitcnt vmcnt(0) lgkmcnt(0)
	v_ashrrev_i32_e32 v33, 31, v32
	s_delay_alu instid0(VALU_DEP_1)
	v_lshrrev_b64 v[32:33], 2, v[32:33]
.LBB4_480:                              ;   in Loop: Header=BB4_458 Depth=1
	s_or_b32 exec_lo, exec_lo, s21
	s_delay_alu instid0(SALU_CYCLE_1)
	s_or_not1_b32 s10, vcc_lo, exec_lo
.LBB4_481:                              ;   in Loop: Header=BB4_458 Depth=1
	s_or_b32 exec_lo, exec_lo, s20
	s_and_saveexec_b32 s20, s10
; %bb.482:                              ;   in Loop: Header=BB4_458 Depth=1
	v_mad_i64_i32 v[32:33], null, v37, v48, 0
; %bb.483:                              ;   in Loop: Header=BB4_458 Depth=1
	s_or_b32 exec_lo, exec_lo, s20
	s_delay_alu instid0(VALU_DEP_1) | instskip(SKIP_2) | instid1(VALU_DEP_2)
	v_lshlrev_b64 v[32:33], 2, v[32:33]
	v_and_b32_e32 v25, 0x2000, v38
	s_mov_b32 s10, exec_lo
	v_add_co_u32 v32, vcc_lo, v18, v32
	s_delay_alu instid0(VALU_DEP_3)
	v_add_co_ci_u32_e32 v33, vcc_lo, v19, v33, vcc_lo
	ds_store_b64 v0, v[32:33] offset:784
	v_cmpx_ne_u32_e32 0, v25
	s_cbranch_execz .LBB4_485
; %bb.484:                              ;   in Loop: Header=BB4_458 Depth=1
	ds_load_b64 v[32:33], v0 offset:584
	s_waitcnt lgkmcnt(0)
	v_add_co_u32 v32, vcc_lo, v32, 1
	v_add_co_ci_u32_e32 v33, vcc_lo, 0, v33, vcc_lo
	ds_store_b64 v0, v[32:33] offset:584
.LBB4_485:                              ;   in Loop: Header=BB4_458 Depth=1
	s_or_b32 exec_lo, exec_lo, s10
	v_add_co_u32 v8, vcc_lo, v8, 1
	v_add_co_ci_u32_e32 v9, vcc_lo, 0, v9, vcc_lo
.LBB4_486:                              ;   in Loop: Header=BB4_458 Depth=1
	s_or_b32 exec_lo, exec_lo, s11
	s_and_saveexec_b32 s10, s2
	s_cbranch_execz .LBB4_508
; %bb.487:                              ;   in Loop: Header=BB4_458 Depth=1
	s_and_saveexec_b32 s11, s3
	s_delay_alu instid0(SALU_CYCLE_1)
	s_xor_b32 s11, exec_lo, s11
	s_cbranch_execz .LBB4_505
; %bb.488:                              ;   in Loop: Header=BB4_458 Depth=1
	s_and_saveexec_b32 s20, s4
	s_cbranch_execz .LBB4_504
; %bb.489:                              ;   in Loop: Header=BB4_458 Depth=1
	s_mov_b32 s22, exec_lo
	s_mov_b32 s21, exec_lo
	v_mbcnt_lo_u32_b32 v25, s22, 0
	s_waitcnt lgkmcnt(0)
	s_waitcnt_vscnt null, 0x0
	buffer_gl1_inv
	buffer_gl0_inv
	v_cmpx_eq_u32_e32 0, v25
	s_cbranch_execz .LBB4_491
; %bb.490:                              ;   in Loop: Header=BB4_458 Depth=1
	s_bcnt1_i32_b32 s22, s22
	s_delay_alu instid0(SALU_CYCLE_1)
	v_mov_b32_e32 v25, s22
	ds_add_u64 v0, v[25:26]
	s_cbranch_execnz .LBB4_786
.LBB4_491:                              ;   in Loop: Header=BB4_458 Depth=1
	s_or_b32 exec_lo, exec_lo, s21
	s_cbranch_execnz .LBB4_776
; %bb.492:                              ;   in Loop: Header=BB4_458 Depth=1
	ds_load_b64 v[32:33], v0
	v_add_co_u32 v10, vcc_lo, v10, v50
	v_add_co_ci_u32_e32 v11, vcc_lo, 0, v11, vcc_lo
	s_mov_b32 s21, exec_lo
	s_waitcnt lgkmcnt(0)
	s_delay_alu instid0(VALU_DEP_1)
	v_cmpx_lt_u64_e64 v[32:33], v[10:11]
	s_cbranch_execz .LBB4_503
; %bb.493:                              ;   in Loop: Header=BB4_458 Depth=1
	s_mov_b32 s22, 0
	s_mov_b32 s25, 0
                                        ; implicit-def: $sgpr23
                                        ; implicit-def: $sgpr24
	s_branch .LBB4_495
.LBB4_494:                              ;   in Loop: Header=BB4_495 Depth=2
	s_or_b32 exec_lo, exec_lo, s28
	s_delay_alu instid0(SALU_CYCLE_1) | instskip(NEXT) | instid1(SALU_CYCLE_1)
	s_and_b32 s26, exec_lo, s27
	s_or_b32 s22, s26, s22
	s_and_not1_b32 s23, s23, exec_lo
	s_and_b32 s26, s24, exec_lo
	s_delay_alu instid0(SALU_CYCLE_1)
	s_or_b32 s23, s23, s26
	s_and_not1_b32 exec_lo, exec_lo, s22
	s_cbranch_execz .LBB4_501
.LBB4_495:                              ;   Parent Loop BB4_458 Depth=1
                                        ; =>  This Inner Loop Header: Depth=2
	s_add_i32 s25, s25, 1
                                        ; implicit-def: $sgpr27
	s_delay_alu instid0(SALU_CYCLE_1) | instskip(SKIP_1) | instid1(SALU_CYCLE_1)
	s_cmpk_lg_i32 s25, 0x2710
	s_cselect_b32 s26, -1, 0
	s_and_b32 vcc_lo, exec_lo, s26
	s_cbranch_vccz .LBB4_499
.LBB4_496:                              ;   in Loop: Header=BB4_495 Depth=2
	s_and_not1_b32 s24, s24, exec_lo
	s_and_b32 s28, s27, exec_lo
	s_mov_b32 s27, -1
	s_or_b32 s24, s24, s28
	s_and_saveexec_b32 s28, s26
	s_cbranch_execz .LBB4_494
; %bb.497:                              ;   in Loop: Header=BB4_495 Depth=2
	s_sleep 1
	s_cbranch_execnz .LBB4_814
; %bb.498:                              ;   in Loop: Header=BB4_495 Depth=2
	ds_load_b64 v[32:33], v0
	s_and_not1_b32 s24, s24, exec_lo
	s_waitcnt lgkmcnt(0)
	v_cmp_ge_u64_e32 vcc_lo, v[32:33], v[10:11]
	s_or_not1_b32 s27, vcc_lo, exec_lo
	s_branch .LBB4_494
.LBB4_499:                              ;   in Loop: Header=BB4_495 Depth=2
	s_cbranch_execnz .LBB4_824
; %bb.500:                              ;   in Loop: Header=BB4_495 Depth=2
	ds_load_b64 v[32:33], v0
	s_and_not1_b32 s26, s26, exec_lo
	s_mov_b32 s25, 0
	s_mov_b32 s27, -1
	s_waitcnt lgkmcnt(0)
	flat_load_b32 v25, v[32:33] glc
	s_waitcnt vmcnt(0) lgkmcnt(0)
	buffer_gl1_inv
	buffer_gl0_inv
	v_cmp_eq_u32_e32 vcc_lo, 0, v25
	s_and_b32 s28, vcc_lo, exec_lo
	s_delay_alu instid0(SALU_CYCLE_1)
	s_or_b32 s26, s26, s28
	s_branch .LBB4_496
.LBB4_501:                              ;   in Loop: Header=BB4_458 Depth=1
	s_or_b32 exec_lo, exec_lo, s22
	s_and_saveexec_b32 s22, s23
	s_delay_alu instid0(SALU_CYCLE_1)
	s_xor_b32 s22, exec_lo, s22
	s_cbranch_execz .LBB4_503
; %bb.502:                              ;   in Loop: Header=BB4_458 Depth=1
	ds_store_b32 v0, v71
	s_cbranch_execnz .LBB4_922
.LBB4_503:                              ;   in Loop: Header=BB4_458 Depth=1
	s_or_b32 exec_lo, exec_lo, s21
	;;#ASMSTART
	s_wakeup
	;;#ASMEND
.LBB4_504:                              ;   in Loop: Header=BB4_458 Depth=1
	s_or_b32 exec_lo, exec_lo, s20
.LBB4_505:                              ;   in Loop: Header=BB4_458 Depth=1
	s_and_not1_saveexec_b32 s11, s11
	s_cbranch_execz .LBB4_507
; %bb.506:                              ;   in Loop: Header=BB4_458 Depth=1
	s_waitcnt lgkmcnt(0)
	s_waitcnt_vscnt null, 0x0
	buffer_gl1_inv
	buffer_gl0_inv
	s_barrier
.LBB4_507:                              ;   in Loop: Header=BB4_458 Depth=1
	s_or_b32 exec_lo, exec_lo, s11
.LBB4_508:                              ;   in Loop: Header=BB4_458 Depth=1
	s_delay_alu instid0(SALU_CYCLE_1)
	s_or_b32 exec_lo, exec_lo, s10
	s_cbranch_execnz .LBB4_723
; %bb.509:                              ;   in Loop: Header=BB4_458 Depth=1
	ds_load_b32 v32, v0
	v_and_b32_e32 v25, 0x4000, v38
	s_delay_alu instid0(VALU_DEP_1) | instskip(SKIP_1) | instid1(SALU_CYCLE_1)
	v_cmp_ne_u32_e32 vcc_lo, 0, v25
	s_and_b32 s11, s17, vcc_lo
	s_and_saveexec_b32 s10, s11
	s_cbranch_execz .LBB4_531
; %bb.510:                              ;   in Loop: Header=BB4_458 Depth=1
	s_and_saveexec_b32 s11, s3
	s_delay_alu instid0(SALU_CYCLE_1)
	s_xor_b32 s11, exec_lo, s11
	s_cbranch_execz .LBB4_528
; %bb.511:                              ;   in Loop: Header=BB4_458 Depth=1
	s_and_saveexec_b32 s20, s4
	s_cbranch_execz .LBB4_527
; %bb.512:                              ;   in Loop: Header=BB4_458 Depth=1
	s_mov_b32 s22, exec_lo
	s_mov_b32 s21, exec_lo
	v_mbcnt_lo_u32_b32 v25, s22, 0
	s_waitcnt lgkmcnt(0)
	s_waitcnt_vscnt null, 0x0
	buffer_gl1_inv
	buffer_gl0_inv
	v_cmpx_eq_u32_e32 0, v25
	s_cbranch_execz .LBB4_514
; %bb.513:                              ;   in Loop: Header=BB4_458 Depth=1
	s_bcnt1_i32_b32 s22, s22
	s_delay_alu instid0(SALU_CYCLE_1)
	v_mov_b32_e32 v25, s22
	ds_add_u64 v0, v[25:26]
	s_cbranch_execnz .LBB4_812
.LBB4_514:                              ;   in Loop: Header=BB4_458 Depth=1
	s_or_b32 exec_lo, exec_lo, s21
	s_cbranch_execnz .LBB4_800
; %bb.515:                              ;   in Loop: Header=BB4_458 Depth=1
	ds_load_b64 v[33:34], v0
	v_add_co_u32 v10, vcc_lo, v10, v50
	v_add_co_ci_u32_e32 v11, vcc_lo, 0, v11, vcc_lo
	s_mov_b32 s21, exec_lo
	s_waitcnt lgkmcnt(0)
	s_delay_alu instid0(VALU_DEP_1)
	v_cmpx_lt_u64_e64 v[33:34], v[10:11]
	s_cbranch_execz .LBB4_526
; %bb.516:                              ;   in Loop: Header=BB4_458 Depth=1
	s_mov_b32 s22, 0
	s_mov_b32 s25, 0
                                        ; implicit-def: $sgpr23
                                        ; implicit-def: $sgpr24
	s_branch .LBB4_518
.LBB4_517:                              ;   in Loop: Header=BB4_518 Depth=2
	s_or_b32 exec_lo, exec_lo, s28
	s_delay_alu instid0(SALU_CYCLE_1) | instskip(NEXT) | instid1(SALU_CYCLE_1)
	s_and_b32 s26, exec_lo, s27
	s_or_b32 s22, s26, s22
	s_and_not1_b32 s23, s23, exec_lo
	s_and_b32 s26, s24, exec_lo
	s_delay_alu instid0(SALU_CYCLE_1)
	s_or_b32 s23, s23, s26
	s_and_not1_b32 exec_lo, exec_lo, s22
	s_cbranch_execz .LBB4_524
.LBB4_518:                              ;   Parent Loop BB4_458 Depth=1
                                        ; =>  This Inner Loop Header: Depth=2
	s_add_i32 s25, s25, 1
                                        ; implicit-def: $sgpr27
	s_delay_alu instid0(SALU_CYCLE_1) | instskip(SKIP_1) | instid1(SALU_CYCLE_1)
	s_cmpk_lg_i32 s25, 0x2710
	s_cselect_b32 s26, -1, 0
	s_and_b32 vcc_lo, exec_lo, s26
	s_cbranch_vccz .LBB4_522
.LBB4_519:                              ;   in Loop: Header=BB4_518 Depth=2
	s_and_not1_b32 s24, s24, exec_lo
	s_and_b32 s28, s27, exec_lo
	s_mov_b32 s27, -1
	s_or_b32 s24, s24, s28
	s_and_saveexec_b32 s28, s26
	s_cbranch_execz .LBB4_517
; %bb.520:                              ;   in Loop: Header=BB4_518 Depth=2
	s_sleep 1
	s_cbranch_execnz .LBB4_844
; %bb.521:                              ;   in Loop: Header=BB4_518 Depth=2
	ds_load_b64 v[33:34], v0
	s_and_not1_b32 s24, s24, exec_lo
	s_waitcnt lgkmcnt(0)
	v_cmp_ge_u64_e32 vcc_lo, v[33:34], v[10:11]
	s_or_not1_b32 s27, vcc_lo, exec_lo
	s_branch .LBB4_517
.LBB4_522:                              ;   in Loop: Header=BB4_518 Depth=2
	s_cbranch_execnz .LBB4_858
; %bb.523:                              ;   in Loop: Header=BB4_518 Depth=2
	ds_load_b64 v[33:34], v0
	s_and_not1_b32 s26, s26, exec_lo
	s_mov_b32 s25, 0
	s_mov_b32 s27, -1
	s_waitcnt lgkmcnt(0)
	flat_load_b32 v25, v[33:34] glc
	s_waitcnt vmcnt(0) lgkmcnt(0)
	buffer_gl1_inv
	buffer_gl0_inv
	v_cmp_eq_u32_e32 vcc_lo, 0, v25
	s_and_b32 s28, vcc_lo, exec_lo
	s_delay_alu instid0(SALU_CYCLE_1)
	s_or_b32 s26, s26, s28
	s_branch .LBB4_519
.LBB4_524:                              ;   in Loop: Header=BB4_458 Depth=1
	s_or_b32 exec_lo, exec_lo, s22
	s_and_saveexec_b32 s22, s23
	s_delay_alu instid0(SALU_CYCLE_1)
	s_xor_b32 s22, exec_lo, s22
	s_cbranch_execz .LBB4_526
; %bb.525:                              ;   in Loop: Header=BB4_458 Depth=1
	ds_store_b32 v0, v71
	s_cbranch_execnz .LBB4_930
.LBB4_526:                              ;   in Loop: Header=BB4_458 Depth=1
	s_or_b32 exec_lo, exec_lo, s21
	;;#ASMSTART
	s_wakeup
	;;#ASMEND
.LBB4_527:                              ;   in Loop: Header=BB4_458 Depth=1
	s_or_b32 exec_lo, exec_lo, s20
.LBB4_528:                              ;   in Loop: Header=BB4_458 Depth=1
	s_and_not1_saveexec_b32 s11, s11
	s_cbranch_execz .LBB4_530
; %bb.529:                              ;   in Loop: Header=BB4_458 Depth=1
	s_waitcnt lgkmcnt(0)
	s_waitcnt_vscnt null, 0x0
	buffer_gl1_inv
	buffer_gl0_inv
	s_barrier
.LBB4_530:                              ;   in Loop: Header=BB4_458 Depth=1
	s_or_b32 exec_lo, exec_lo, s11
.LBB4_531:                              ;   in Loop: Header=BB4_458 Depth=1
	s_delay_alu instid0(SALU_CYCLE_1)
	s_or_b32 exec_lo, exec_lo, s10
	s_cbranch_execnz .LBB4_739
; %bb.532:                              ;   in Loop: Header=BB4_458 Depth=1
	s_waitcnt lgkmcnt(1)
	ds_load_b64 v[33:34], v0
	s_waitcnt lgkmcnt(0)
	v_cmp_eq_u64_e32 vcc_lo, 0, v[33:34]
	s_or_b32 s10, vcc_lo, vcc_lo
	s_delay_alu instid0(SALU_CYCLE_1)
	s_and_b32 vcc_lo, exec_lo, s10
	s_mov_b32 s10, 0
	s_cbranch_vccnz .LBB4_566
; %bb.533:                              ;   in Loop: Header=BB4_458 Depth=1
	s_mov_b32 s10, -1
	s_and_saveexec_b32 s11, s5
	s_cbranch_execz .LBB4_535
; %bb.534:                              ;   in Loop: Header=BB4_458 Depth=1
	ds_load_b32 v25, v0 offset:720
	s_waitcnt lgkmcnt(0)
	v_and_b32_e32 v25, 15, v25
	s_delay_alu instid0(VALU_DEP_1)
	v_cmp_eq_u32_e32 vcc_lo, 0, v25
	s_or_not1_b32 s10, vcc_lo, exec_lo
.LBB4_535:                              ;   in Loop: Header=BB4_458 Depth=1
	s_or_b32 exec_lo, exec_lo, s11
	s_and_saveexec_b32 s11, s6
	s_cbranch_execz .LBB4_537
; %bb.536:                              ;   in Loop: Header=BB4_458 Depth=1
	ds_load_b32 v25, v0 offset:784
	s_waitcnt lgkmcnt(0)
	v_and_b32_e32 v25, 15, v25
	s_delay_alu instid0(VALU_DEP_1) | instskip(SKIP_3) | instid1(SALU_CYCLE_1)
	v_cmp_eq_u32_e32 vcc_lo, 0, v25
	s_and_b32 s20, s10, vcc_lo
	s_and_not1_b32 s10, s10, exec_lo
	s_and_b32 s20, s20, exec_lo
	s_or_b32 s10, s10, s20
.LBB4_537:                              ;   in Loop: Header=BB4_458 Depth=1
	s_or_b32 exec_lo, exec_lo, s11
	v_cmp_eq_u32_e32 vcc_lo, 0, v32
	s_xor_b32 s10, s10, -1
	v_mov_b32_e32 v80, 0
	v_cndmask_b32_e64 v33, 0, 1, s10
	;;#ASMSTART
	;;#ASMEND
	v_cndmask_b32_e32 v25, 0, v36, vcc_lo
	s_delay_alu instid0(VALU_DEP_2) | instskip(SKIP_1) | instid1(VALU_DEP_2)
	v_cmp_ne_u32_e32 vcc_lo, 0, v33
	s_mov_b32 s10, -1
	v_lshlrev_b32_e32 v37, 2, v25
	s_cbranch_vccz .LBB4_539
; %bb.538:                              ;   in Loop: Header=BB4_458 Depth=1
	v_mov_b32_e32 v81, v0
	v_mov_b32_e32 v85, v51
	s_branch .LBB4_554
.LBB4_539:                              ;   in Loop: Header=BB4_458 Depth=1
	v_lshrrev_b32_e32 v80, 9, v25
	s_mov_b32 s11, exec_lo
	s_delay_alu instid0(VALU_DEP_1) | instskip(NEXT) | instid1(VALU_DEP_1)
	v_sub_nc_u32_e32 v82, v80, v51
	v_cmpx_lt_i32_e32 0, v82
	s_cbranch_execz .LBB4_544
; %bb.540:                              ;   in Loop: Header=BB4_458 Depth=1
	s_cbranch_execnz .LBB4_828
; %bb.541:                              ;   in Loop: Header=BB4_458 Depth=1
	ds_load_b64 v[32:33], v0
	s_mov_b32 s20, 0
	s_waitcnt lgkmcnt(0)
	v_dual_mov_b32 v35, v33 :: v_dual_mov_b32 v34, v32
	s_set_inst_prefetch_distance 0x1
.LBB4_542:                              ;   Parent Loop BB4_458 Depth=1
                                        ; =>  This Inner Loop Header: Depth=2
	s_delay_alu instid0(VALU_DEP_1) | instskip(NEXT) | instid1(VALU_DEP_2)
	v_add_co_u32 v112, vcc_lo, v55, v34
	v_add_co_ci_u32_e32 v113, vcc_lo, v66, v35, vcc_lo
	v_add_co_u32 v116, vcc_lo, v55, v32
	v_sub_nc_u32_e32 v82, v82, v50
	s_clause 0x3
	global_load_b128 v[83:86], v[112:113], off slc dlc
	global_load_b128 v[96:99], v[112:113], off offset:512 slc dlc
	global_load_b128 v[100:103], v[112:113], off offset:1024 slc dlc
	;; [unrolled: 1-line block ×3, first 2 shown]
	v_add_co_ci_u32_e32 v117, vcc_lo, v66, v33, vcc_lo
	v_add_co_u32 v34, vcc_lo, v34, v64
	v_add_co_ci_u32_e32 v35, vcc_lo, v35, v65, vcc_lo
	v_add_co_u32 v32, vcc_lo, v32, v64
	v_cmp_gt_i32_e64 s10, 1, v82
	v_add_co_ci_u32_e32 v33, vcc_lo, v33, v65, vcc_lo
	s_waitcnt vmcnt(3)
	global_store_b128 v[116:117], v[83:86], off glc slc dlc
	s_waitcnt vmcnt(2)
	global_store_b128 v[116:117], v[96:99], off offset:512 glc slc dlc
	s_waitcnt vmcnt(1)
	global_store_b128 v[116:117], v[100:103], off offset:1024 glc slc dlc
	;; [unrolled: 2-line block ×3, first 2 shown]
	s_or_b32 s20, s10, s20
	s_delay_alu instid0(SALU_CYCLE_1)
	s_and_not1_b32 exec_lo, exec_lo, s20
	s_cbranch_execnz .LBB4_542
; %bb.543:                              ;   in Loop: Header=BB4_458 Depth=1
	s_set_inst_prefetch_distance 0x2
	s_or_b32 exec_lo, exec_lo, s20
.LBB4_544:                              ;   in Loop: Header=BB4_458 Depth=1
	s_delay_alu instid0(SALU_CYCLE_1) | instskip(SKIP_4) | instid1(VALU_DEP_2)
	s_or_b32 exec_lo, exec_lo, s11
	v_lshlrev_b32_e32 v34, 11, v80
	v_mov_b32_e32 v80, 0
	s_mov_b32 s10, 0
	s_mov_b32 s20, exec_lo
                                        ; implicit-def: $vgpr81
                                        ; implicit-def: $vgpr85
	v_cmpx_ne_u32_e64 v37, v34
	s_cbranch_execz .LBB4_553
; %bb.545:                              ;   in Loop: Header=BB4_458 Depth=1
	v_lshlrev_b32_e32 v32, 5, v82
	v_sub_nc_u32_e32 v80, v37, v34
	s_mov_b32 s21, exec_lo
	s_delay_alu instid0(VALU_DEP_2) | instskip(NEXT) | instid1(VALU_DEP_2)
	v_sub_nc_u32_e32 v32, v53, v32
	v_ashrrev_i32_e32 v35, 31, v80
	s_delay_alu instid0(VALU_DEP_2) | instskip(NEXT) | instid1(VALU_DEP_2)
	v_ashrrev_i32_e32 v33, 31, v32
	v_lshrrev_b32_e32 v35, 23, v35
	s_delay_alu instid0(VALU_DEP_2) | instskip(NEXT) | instid1(VALU_DEP_2)
	v_lshrrev_b32_e32 v33, 27, v33
	v_add_nc_u32_e32 v84, v80, v35
	s_delay_alu instid0(VALU_DEP_2) | instskip(NEXT) | instid1(VALU_DEP_2)
	v_add_nc_u32_e32 v33, v32, v33
	v_and_b32_e32 v35, 0xfffffe00, v84
	v_ashrrev_i32_e32 v84, 9, v84
	s_delay_alu instid0(VALU_DEP_3) | instskip(NEXT) | instid1(VALU_DEP_3)
	v_and_b32_e32 v81, 0xffffffe0, v33
	v_sub_nc_u32_e32 v83, v80, v35
	s_delay_alu instid0(VALU_DEP_2) | instskip(SKIP_1) | instid1(VALU_DEP_3)
	v_sub_nc_u32_e32 v82, v32, v81
	v_ashrrev_i32_e32 v32, 5, v33
	v_cmp_lt_i32_e32 vcc_lo, 15, v83
	s_delay_alu instid0(VALU_DEP_3) | instskip(NEXT) | instid1(VALU_DEP_1)
	v_lshlrev_b32_e32 v33, 4, v82
	v_lshl_add_u32 v81, v32, 9, v33
	v_add_co_ci_u32_e64 v33, s10, 0, v84, vcc_lo
	s_delay_alu instid0(VALU_DEP_2) | instskip(NEXT) | instid1(VALU_DEP_2)
	v_sub_nc_u32_e32 v80, v80, v81
	v_sub_nc_u32_e32 v84, v33, v32
	s_delay_alu instid0(VALU_DEP_2)
	v_cmpx_lt_i32_e32 15, v80
	s_cbranch_execz .LBB4_550
; %bb.546:                              ;   in Loop: Header=BB4_458 Depth=1
	s_cbranch_execnz .LBB4_882
; %bb.547:                              ;   in Loop: Header=BB4_458 Depth=1
	ds_load_b64 v[32:33], v0
	v_add_nc_u32_e32 v81, v81, v34
	s_mov_b32 s22, 0
	s_delay_alu instid0(VALU_DEP_1)
	v_ashrrev_i32_e32 v85, 31, v81
.LBB4_548:                              ;   Parent Loop BB4_458 Depth=1
                                        ; =>  This Inner Loop Header: Depth=2
	s_waitcnt lgkmcnt(0)
	v_add_co_u32 v86, s10, v32, v81
	s_delay_alu instid0(VALU_DEP_1)
	v_add_co_ci_u32_e64 v87, s10, v33, v85, s10
	v_sub_nc_u32_e32 v80, v80, v52
	v_add_co_u32 v81, s11, v81, v67
	global_load_b128 v[96:99], v[86:87], off slc dlc
	v_sub_nc_u32_e32 v84, v84, v50
	v_cmp_gt_i32_e64 s10, 16, v80
	v_add_co_ci_u32_e64 v85, s11, v85, v68, s11
	s_delay_alu instid0(VALU_DEP_2)
	s_or_b32 s22, s10, s22
	s_waitcnt vmcnt(0)
	global_store_b128 v[86:87], v[96:99], off glc slc dlc
	s_and_not1_b32 exec_lo, exec_lo, s22
	s_cbranch_execnz .LBB4_548
; %bb.549:                              ;   in Loop: Header=BB4_458 Depth=1
	s_or_b32 exec_lo, exec_lo, s22
.LBB4_550:                              ;   in Loop: Header=BB4_458 Depth=1
	s_delay_alu instid0(SALU_CYCLE_1) | instskip(SKIP_3) | instid1(VALU_DEP_1)
	s_or_b32 exec_lo, exec_lo, s21
	v_and_b32_e32 v32, 12, v37
	s_mov_b32 s11, 0
	s_mov_b32 s21, exec_lo
                                        ; implicit-def: $vgpr81
                                        ; implicit-def: $vgpr85
	v_dual_mov_b32 v80, 0 :: v_dual_cndmask_b32 v37, v83, v32
	s_delay_alu instid0(VALU_DEP_1)
	v_cmpx_ne_u32_e32 0, v37
; %bb.551:                              ;   in Loop: Header=BB4_458 Depth=1
	v_cmp_lt_i32_e64 s10, 0, v84
	v_sub_nc_u32_e32 v32, v83, v32
	s_mov_b32 s11, exec_lo
	s_delay_alu instid0(VALU_DEP_2) | instskip(NEXT) | instid1(VALU_DEP_1)
	v_cndmask_b32_e64 v33, 0, v50, s10
	v_sub_nc_u32_e32 v33, v33, v84
	s_delay_alu instid0(VALU_DEP_1) | instskip(NEXT) | instid1(VALU_DEP_1)
	v_lshl_add_u32 v81, v33, 5, v82
	v_ashrrev_i32_e32 v33, 31, v81
	s_delay_alu instid0(VALU_DEP_1) | instskip(NEXT) | instid1(VALU_DEP_1)
	v_lshrrev_b32_e32 v33, 27, v33
	v_dual_cndmask_b32 v32, 0, v32 :: v_dual_add_nc_u32 v33, v81, v33
	s_delay_alu instid0(VALU_DEP_1) | instskip(NEXT) | instid1(VALU_DEP_2)
	v_add3_u32 v80, v35, v34, v32
	v_ashrrev_i32_e32 v85, 5, v33
; %bb.552:                              ;   in Loop: Header=BB4_458 Depth=1
	s_or_b32 exec_lo, exec_lo, s21
	s_delay_alu instid0(SALU_CYCLE_1)
	s_and_b32 s10, s11, exec_lo
.LBB4_553:                              ;   in Loop: Header=BB4_458 Depth=1
	s_or_b32 exec_lo, exec_lo, s20
.LBB4_554:                              ;   in Loop: Header=BB4_458 Depth=1
	s_and_saveexec_b32 s11, s10
	s_cbranch_execz .LBB4_565
; %bb.555:                              ;   in Loop: Header=BB4_458 Depth=1
	v_ashrrev_i32_e32 v32, 31, v37
	s_mov_b32 s20, exec_lo
	s_delay_alu instid0(VALU_DEP_1) | instskip(NEXT) | instid1(VALU_DEP_1)
	v_lshrrev_b32_e32 v32, 23, v32
	v_add_nc_u32_e32 v32, v37, v32
	s_delay_alu instid0(VALU_DEP_1) | instskip(NEXT) | instid1(VALU_DEP_1)
	v_ashrrev_i32_e32 v83, 9, v32
	v_sub_nc_u32_e32 v82, v83, v85
	s_delay_alu instid0(VALU_DEP_1)
	v_cmpx_lt_i32_e32 0, v82
	s_cbranch_execz .LBB4_560
; %bb.556:                              ;   in Loop: Header=BB4_458 Depth=1
	s_cbranch_execnz .LBB4_816
; %bb.557:                              ;   in Loop: Header=BB4_458 Depth=1
	v_ashrrev_i32_e32 v32, 31, v81
	s_mov_b32 s21, 0
	s_delay_alu instid0(VALU_DEP_1) | instskip(NEXT) | instid1(VALU_DEP_1)
	v_lshrrev_b32_e32 v32, 27, v32
	v_add_nc_u32_e32 v32, v81, v32
	s_delay_alu instid0(VALU_DEP_1) | instskip(SKIP_3) | instid1(VALU_DEP_1)
	v_and_b32_e32 v34, 0x3fffffe0, v32
	ds_load_b64 v[32:33], v0
	v_lshlrev_b32_e32 v35, 9, v85
	v_sub_nc_u32_e32 v34, v81, v34
	v_lshlrev_b32_e32 v34, 2, v34
	s_delay_alu instid0(VALU_DEP_1) | instskip(NEXT) | instid1(VALU_DEP_1)
	v_add3_u32 v84, v34, v80, v35
	v_ashrrev_i32_e32 v85, 31, v84
	s_waitcnt lgkmcnt(0)
	v_dual_mov_b32 v35, v33 :: v_dual_mov_b32 v34, v32
	s_set_inst_prefetch_distance 0x1
.LBB4_558:                              ;   Parent Loop BB4_458 Depth=1
                                        ; =>  This Inner Loop Header: Depth=2
	s_delay_alu instid0(VALU_DEP_1) | instskip(NEXT) | instid1(VALU_DEP_2)
	v_add_co_u32 v86, vcc_lo, v84, v34
	v_add_co_ci_u32_e32 v87, vcc_lo, v85, v35, vcc_lo
	v_sub_nc_u32_e32 v82, v82, v50
	s_clause 0x3
	flat_load_b32 v96, v[86:87] slc dlc
	flat_load_b32 v97, v[86:87] offset:128 slc dlc
	flat_load_b32 v98, v[86:87] offset:256 slc dlc
	;; [unrolled: 1-line block ×3, first 2 shown]
	v_add_co_u32 v86, vcc_lo, v84, v32
	v_add_co_ci_u32_e32 v87, vcc_lo, v85, v33, vcc_lo
	v_add_co_u32 v34, vcc_lo, v34, v67
	v_add_co_ci_u32_e32 v35, vcc_lo, v35, v68, vcc_lo
	v_add_co_u32 v32, vcc_lo, v32, v67
	v_cmp_gt_i32_e64 s10, 1, v82
	v_add_co_ci_u32_e32 v33, vcc_lo, v33, v68, vcc_lo
	s_waitcnt vmcnt(3) lgkmcnt(3)
	flat_store_b32 v[86:87], v96 glc slc dlc
	s_waitcnt vmcnt(2) lgkmcnt(3)
	flat_store_b32 v[86:87], v97 offset:128 glc slc dlc
	s_waitcnt vmcnt(1) lgkmcnt(3)
	flat_store_b32 v[86:87], v98 offset:256 glc slc dlc
	;; [unrolled: 2-line block ×3, first 2 shown]
	s_or_b32 s21, s10, s21
	s_delay_alu instid0(SALU_CYCLE_1)
	s_and_not1_b32 exec_lo, exec_lo, s21
	s_cbranch_execnz .LBB4_558
; %bb.559:                              ;   in Loop: Header=BB4_458 Depth=1
	s_set_inst_prefetch_distance 0x2
	s_or_b32 exec_lo, exec_lo, s21
.LBB4_560:                              ;   in Loop: Header=BB4_458 Depth=1
	s_delay_alu instid0(SALU_CYCLE_1) | instskip(SKIP_1) | instid1(VALU_DEP_1)
	s_or_b32 exec_lo, exec_lo, s20
	v_lshlrev_b32_e32 v32, 9, v83
	v_cmp_ne_u32_e32 vcc_lo, v37, v32
	s_and_b32 exec_lo, exec_lo, vcc_lo
	s_cbranch_execz .LBB4_565
; %bb.561:                              ;   in Loop: Header=BB4_458 Depth=1
	v_ashrrev_i32_e32 v33, 31, v81
	v_lshlrev_b32_e32 v34, 5, v82
	s_delay_alu instid0(VALU_DEP_2) | instskip(NEXT) | instid1(VALU_DEP_1)
	v_lshrrev_b32_e32 v33, 27, v33
	v_add_nc_u32_e32 v33, v81, v33
	s_delay_alu instid0(VALU_DEP_1) | instskip(NEXT) | instid1(VALU_DEP_1)
	v_and_b32_e32 v33, 0xffffffe0, v33
	v_sub_nc_u32_e32 v33, v81, v33
	s_delay_alu instid0(VALU_DEP_1) | instskip(NEXT) | instid1(VALU_DEP_1)
	v_sub_nc_u32_e32 v33, v33, v34
	v_ashrrev_i32_e32 v34, 31, v33
	s_delay_alu instid0(VALU_DEP_1) | instskip(NEXT) | instid1(VALU_DEP_1)
	v_lshrrev_b32_e32 v34, 27, v34
	v_add_nc_u32_e32 v34, v33, v34
	s_delay_alu instid0(VALU_DEP_1) | instskip(SKIP_1) | instid1(VALU_DEP_2)
	v_and_b32_e32 v35, 0x3fffffe0, v34
	v_lshlrev_b32_e32 v34, 2, v34
	v_sub_nc_u32_e32 v33, v33, v35
	s_delay_alu instid0(VALU_DEP_2) | instskip(NEXT) | instid1(VALU_DEP_2)
	v_and_b32_e32 v34, 0xffffff80, v34
	v_lshlrev_b32_e32 v33, 2, v33
	s_delay_alu instid0(VALU_DEP_1) | instskip(NEXT) | instid1(VALU_DEP_1)
	v_add3_u32 v35, v34, v33, v32
	v_sub_nc_u32_e32 v34, v37, v35
	s_delay_alu instid0(VALU_DEP_1)
	v_cmp_lt_i32_e32 vcc_lo, 3, v34
	s_and_b32 exec_lo, exec_lo, vcc_lo
	s_cbranch_execz .LBB4_565
; %bb.562:                              ;   in Loop: Header=BB4_458 Depth=1
	s_cbranch_execnz .LBB4_864
; %bb.563:                              ;   in Loop: Header=BB4_458 Depth=1
	ds_load_b64 v[32:33], v0
	v_add_nc_u32_e32 v35, v35, v80
	s_mov_b32 s20, 0
	s_delay_alu instid0(VALU_DEP_1)
	v_ashrrev_i32_e32 v37, 31, v35
.LBB4_564:                              ;   Parent Loop BB4_458 Depth=1
                                        ; =>  This Inner Loop Header: Depth=2
	s_waitcnt lgkmcnt(0)
	v_add_co_u32 v80, vcc_lo, v32, v35
	s_delay_alu instid0(VALU_DEP_2)
	v_add_co_ci_u32_e32 v81, vcc_lo, v33, v37, vcc_lo
	v_sub_nc_u32_e32 v34, v34, v54
	v_add_co_u32 v35, s10, v35, v69
	flat_load_b32 v82, v[80:81] slc dlc
	v_add_co_ci_u32_e64 v37, s10, v37, v70, s10
	v_cmp_gt_i32_e32 vcc_lo, 4, v34
	s_or_b32 s20, vcc_lo, s20
	s_waitcnt vmcnt(0) lgkmcnt(0)
	flat_store_b32 v[80:81], v82 glc slc dlc
	s_and_not1_b32 exec_lo, exec_lo, s20
	s_cbranch_execnz .LBB4_564
.LBB4_565:                              ;   in Loop: Header=BB4_458 Depth=1
	s_or_b32 exec_lo, exec_lo, s11
	v_cmp_ne_u32_e64 s10, 0, v25
.LBB4_566:                              ;   in Loop: Header=BB4_458 Depth=1
	s_and_saveexec_b32 s11, s2
	s_cbranch_execz .LBB4_588
; %bb.567:                              ;   in Loop: Header=BB4_458 Depth=1
	s_and_saveexec_b32 s20, s3
	s_delay_alu instid0(SALU_CYCLE_1)
	s_xor_b32 s20, exec_lo, s20
	s_cbranch_execz .LBB4_585
; %bb.568:                              ;   in Loop: Header=BB4_458 Depth=1
	s_and_saveexec_b32 s21, s4
	s_cbranch_execz .LBB4_584
; %bb.569:                              ;   in Loop: Header=BB4_458 Depth=1
	s_mov_b32 s23, exec_lo
	s_mov_b32 s22, exec_lo
	v_mbcnt_lo_u32_b32 v25, s23, 0
	s_waitcnt lgkmcnt(0)
	s_waitcnt_vscnt null, 0x0
	buffer_gl1_inv
	buffer_gl0_inv
	v_cmpx_eq_u32_e32 0, v25
	s_cbranch_execz .LBB4_571
; %bb.570:                              ;   in Loop: Header=BB4_458 Depth=1
	s_bcnt1_i32_b32 s23, s23
	s_delay_alu instid0(SALU_CYCLE_1)
	v_mov_b32_e32 v25, s23
	ds_add_u64 v0, v[25:26]
	s_cbranch_execnz .LBB4_846
.LBB4_571:                              ;   in Loop: Header=BB4_458 Depth=1
	s_or_b32 exec_lo, exec_lo, s22
	s_cbranch_execnz .LBB4_832
; %bb.572:                              ;   in Loop: Header=BB4_458 Depth=1
	ds_load_b64 v[32:33], v0
	v_add_co_u32 v10, vcc_lo, v10, v50
	v_add_co_ci_u32_e32 v11, vcc_lo, 0, v11, vcc_lo
	s_mov_b32 s22, exec_lo
	s_waitcnt lgkmcnt(0)
	s_delay_alu instid0(VALU_DEP_1)
	v_cmpx_lt_u64_e64 v[32:33], v[10:11]
	s_cbranch_execz .LBB4_583
; %bb.573:                              ;   in Loop: Header=BB4_458 Depth=1
	s_mov_b32 s23, 0
	s_mov_b32 s26, 0
                                        ; implicit-def: $sgpr24
                                        ; implicit-def: $sgpr25
	s_branch .LBB4_575
.LBB4_574:                              ;   in Loop: Header=BB4_575 Depth=2
	s_or_b32 exec_lo, exec_lo, s29
	s_delay_alu instid0(SALU_CYCLE_1) | instskip(NEXT) | instid1(SALU_CYCLE_1)
	s_and_b32 s27, exec_lo, s28
	s_or_b32 s23, s27, s23
	s_and_not1_b32 s24, s24, exec_lo
	s_and_b32 s27, s25, exec_lo
	s_delay_alu instid0(SALU_CYCLE_1)
	s_or_b32 s24, s24, s27
	s_and_not1_b32 exec_lo, exec_lo, s23
	s_cbranch_execz .LBB4_581
.LBB4_575:                              ;   Parent Loop BB4_458 Depth=1
                                        ; =>  This Inner Loop Header: Depth=2
	s_add_i32 s26, s26, 1
                                        ; implicit-def: $sgpr28
	s_delay_alu instid0(SALU_CYCLE_1) | instskip(SKIP_1) | instid1(SALU_CYCLE_1)
	s_cmpk_lg_i32 s26, 0x2710
	s_cselect_b32 s27, -1, 0
	s_and_b32 vcc_lo, exec_lo, s27
	s_cbranch_vccz .LBB4_579
.LBB4_576:                              ;   in Loop: Header=BB4_575 Depth=2
	s_and_not1_b32 s25, s25, exec_lo
	s_and_b32 s29, s28, exec_lo
	s_mov_b32 s28, -1
	s_or_b32 s25, s25, s29
	s_and_saveexec_b32 s29, s27
	s_cbranch_execz .LBB4_574
; %bb.577:                              ;   in Loop: Header=BB4_575 Depth=2
	s_sleep 1
	s_cbranch_execnz .LBB4_896
; %bb.578:                              ;   in Loop: Header=BB4_575 Depth=2
	ds_load_b64 v[32:33], v0
	s_and_not1_b32 s25, s25, exec_lo
	s_waitcnt lgkmcnt(0)
	v_cmp_ge_u64_e32 vcc_lo, v[32:33], v[10:11]
	s_or_not1_b32 s28, vcc_lo, exec_lo
	s_branch .LBB4_574
.LBB4_579:                              ;   in Loop: Header=BB4_575 Depth=2
	s_cbranch_execnz .LBB4_906
; %bb.580:                              ;   in Loop: Header=BB4_575 Depth=2
	ds_load_b64 v[32:33], v0
	s_and_not1_b32 s27, s27, exec_lo
	s_mov_b32 s26, 0
	s_mov_b32 s28, -1
	s_waitcnt lgkmcnt(0)
	flat_load_b32 v25, v[32:33] glc
	s_waitcnt vmcnt(0) lgkmcnt(0)
	buffer_gl1_inv
	buffer_gl0_inv
	v_cmp_eq_u32_e32 vcc_lo, 0, v25
	s_and_b32 s29, vcc_lo, exec_lo
	s_delay_alu instid0(SALU_CYCLE_1)
	s_or_b32 s27, s27, s29
	s_branch .LBB4_576
.LBB4_581:                              ;   in Loop: Header=BB4_458 Depth=1
	s_or_b32 exec_lo, exec_lo, s23
	s_and_saveexec_b32 s23, s24
	s_delay_alu instid0(SALU_CYCLE_1)
	s_xor_b32 s23, exec_lo, s23
	s_cbranch_execz .LBB4_583
; %bb.582:                              ;   in Loop: Header=BB4_458 Depth=1
	ds_store_b32 v0, v71
	s_cbranch_execnz .LBB4_940
.LBB4_583:                              ;   in Loop: Header=BB4_458 Depth=1
	s_or_b32 exec_lo, exec_lo, s22
	;;#ASMSTART
	s_wakeup
	;;#ASMEND
.LBB4_584:                              ;   in Loop: Header=BB4_458 Depth=1
	s_or_b32 exec_lo, exec_lo, s21
.LBB4_585:                              ;   in Loop: Header=BB4_458 Depth=1
	s_and_not1_saveexec_b32 s20, s20
	s_cbranch_execz .LBB4_587
; %bb.586:                              ;   in Loop: Header=BB4_458 Depth=1
	s_waitcnt lgkmcnt(0)
	s_waitcnt_vscnt null, 0x0
	buffer_gl1_inv
	buffer_gl0_inv
	s_barrier
.LBB4_587:                              ;   in Loop: Header=BB4_458 Depth=1
	s_or_b32 exec_lo, exec_lo, s20
.LBB4_588:                              ;   in Loop: Header=BB4_458 Depth=1
	s_delay_alu instid0(SALU_CYCLE_1) | instskip(SKIP_1) | instid1(VALU_DEP_1)
	s_or_b32 exec_lo, exec_lo, s11
	v_and_b32_e32 v25, 16, v38
	v_cmp_ne_u32_e32 vcc_lo, 0, v25
	s_and_b32 s11, vcc_lo, s10
	s_delay_alu instid0(SALU_CYCLE_1)
	s_and_saveexec_b32 s10, s11
	s_cbranch_execz .LBB4_590
; %bb.589:                              ;   in Loop: Header=BB4_458 Depth=1
	s_waitcnt lgkmcnt(0)
	s_waitcnt_vscnt null, 0x0
	buffer_gl1_inv
	buffer_gl0_inv
.LBB4_590:                              ;   in Loop: Header=BB4_458 Depth=1
	s_or_b32 exec_lo, exec_lo, s10
	s_delay_alu instid0(SALU_CYCLE_1)
	s_mov_b32 s10, exec_lo
	v_cmpx_ne_u32_e32 0, v25
	s_cbranch_execz .LBB4_594
; %bb.591:                              ;   in Loop: Header=BB4_458 Depth=1
	s_and_saveexec_b32 s11, s7
	s_cbranch_execz .LBB4_593
; %bb.592:                              ;   in Loop: Header=BB4_458 Depth=1
	s_waitcnt lgkmcnt(0)
	s_waitcnt_vscnt null, 0x0
	flat_store_b32 v[22:23], v71
.LBB4_593:                              ;   in Loop: Header=BB4_458 Depth=1
	s_or_b32 exec_lo, exec_lo, s11
	v_add_co_u32 v8, vcc_lo, v8, 1
	v_add_co_ci_u32_e32 v9, vcc_lo, 0, v9, vcc_lo
	s_waitcnt lgkmcnt(0)
	s_waitcnt_vscnt null, 0x0
	flat_store_b64 v[16:17], v[8:9]
.LBB4_594:                              ;   in Loop: Header=BB4_458 Depth=1
	s_or_b32 exec_lo, exec_lo, s10
	v_mov_b32_e32 v25, v36
.LBB4_595:                              ;   in Loop: Header=BB4_458 Depth=1
	s_or_b32 exec_lo, exec_lo, s19
	s_and_saveexec_b32 s11, s18
	s_cbranch_execz .LBB4_652
; %bb.596:                              ;   in Loop: Header=BB4_458 Depth=1
	v_and_b32_e32 v32, 8, v38
	s_mov_b32 s18, -1
	s_mov_b32 s10, exec_lo
	s_delay_alu instid0(VALU_DEP_1)
	v_cmpx_ne_u32_e32 0, v32
	s_cbranch_execz .LBB4_610
; %bb.597:                              ;   in Loop: Header=BB4_458 Depth=1
	s_waitcnt lgkmcnt(0)
	v_add_co_u32 v34, vcc_lo, v20, 8
	v_add_co_ci_u32_e32 v35, vcc_lo, 0, v21, vcc_lo
	v_add_co_u32 v32, vcc_lo, v8, 1
	v_add_co_ci_u32_e32 v33, vcc_lo, 0, v9, vcc_lo
	s_delay_alu instid0(VALU_DEP_1)
	v_cmp_lt_u64_e32 vcc_lo, v[34:35], v[32:33]
	v_mov_b32_e32 v34, 1
	s_and_saveexec_b32 s18, vcc_lo
	s_cbranch_execz .LBB4_609
; %bb.598:                              ;   in Loop: Header=BB4_458 Depth=1
	v_mov_b32_e32 v34, 0
	s_mov_b32 s19, 0
                                        ; implicit-def: $sgpr20
	s_branch .LBB4_602
.LBB4_599:                              ;   in Loop: Header=BB4_602 Depth=2
	s_or_b32 exec_lo, exec_lo, s24
	v_mov_b32_e32 v35, 0
	s_or_not1_b32 s23, s23, exec_lo
.LBB4_600:                              ;   in Loop: Header=BB4_602 Depth=2
	s_or_b32 exec_lo, exec_lo, s22
	s_delay_alu instid0(VALU_DEP_1) | instskip(SKIP_2) | instid1(SALU_CYCLE_1)
	v_mov_b32_e32 v34, v35
	s_and_not1_b32 s20, s20, exec_lo
	s_and_b32 s22, s23, exec_lo
	s_or_b32 s20, s20, s22
.LBB4_601:                              ;   in Loop: Header=BB4_602 Depth=2
	s_or_b32 exec_lo, exec_lo, s21
	s_waitcnt vmcnt(0) lgkmcnt(0)
	v_add_co_u32 v80, vcc_lo, v20, 8
	v_add_co_ci_u32_e32 v81, vcc_lo, 0, v21, vcc_lo
	s_xor_b32 s21, s20, -1
	s_delay_alu instid0(VALU_DEP_1) | instskip(SKIP_1) | instid1(SALU_CYCLE_1)
	v_cmp_ge_u64_e32 vcc_lo, v[80:81], v[32:33]
	s_or_b32 s21, s21, vcc_lo
	s_and_b32 s21, exec_lo, s21
	s_delay_alu instid0(SALU_CYCLE_1) | instskip(NEXT) | instid1(SALU_CYCLE_1)
	s_or_b32 s19, s21, s19
	s_and_not1_b32 exec_lo, exec_lo, s19
	s_cbranch_execz .LBB4_608
.LBB4_602:                              ;   Parent Loop BB4_458 Depth=1
                                        ; =>  This Inner Loop Header: Depth=2
	s_sleep 1
	flat_load_b64 v[20:21], v[16:17] glc
	v_and_b32_e32 v35, 64, v38
	s_and_not1_b32 s20, s20, exec_lo
	s_mov_b32 s21, exec_lo
	s_delay_alu instid0(VALU_DEP_1)
	v_cmpx_eq_u32_e32 0, v35
	s_cbranch_execz .LBB4_601
; %bb.603:                              ;   in Loop: Header=BB4_602 Depth=2
	v_add_nc_u32_e32 v35, 1, v34
	s_mov_b32 s23, -1
	s_mov_b32 s22, exec_lo
	v_cmpx_lt_i32_e32 0x270e, v34
	s_cbranch_execz .LBB4_600
; %bb.604:                              ;   in Loop: Header=BB4_602 Depth=2
	s_cbranch_execnz .LBB4_741
; %bb.605:                              ;   in Loop: Header=BB4_602 Depth=2
	ds_load_b64 v[34:35], v0
	s_mov_b32 s24, exec_lo
	s_waitcnt vmcnt(0) lgkmcnt(0)
	s_waitcnt_vscnt null, 0x0
	flat_load_b32 v34, v[34:35] glc
	s_waitcnt vmcnt(0) lgkmcnt(0)
	buffer_gl1_inv
	buffer_gl0_inv
	v_cmpx_ne_u32_e32 0, v34
	s_cbranch_execz .LBB4_599
; %bb.606:                              ;   in Loop: Header=BB4_602 Depth=2
	ds_store_b32 v0, v34
	s_cbranch_execnz .LBB4_778
; %bb.607:                              ;   in Loop: Header=BB4_602 Depth=2
	v_or_b32_e32 v38, 64, v38
	s_xor_b32 s23, exec_lo, -1
	s_branch .LBB4_599
.LBB4_608:                              ;   in Loop: Header=BB4_458 Depth=1
	s_or_b32 exec_lo, exec_lo, s19
	v_and_b32_e32 v34, 8, v38
.LBB4_609:                              ;   in Loop: Header=BB4_458 Depth=1
	s_or_b32 exec_lo, exec_lo, s18
	s_delay_alu instid0(VALU_DEP_1)
	v_cmp_eq_u32_e32 vcc_lo, 0, v34
	;;#ASMSTART
	s_wakeup
	;;#ASMEND
	s_or_not1_b32 s18, vcc_lo, exec_lo
.LBB4_610:                              ;   in Loop: Header=BB4_458 Depth=1
	s_or_b32 exec_lo, exec_lo, s10
	v_sub_nc_u32_e32 v24, v24, v25
	s_xor_b32 s18, s18, -1
	s_delay_alu instid0(VALU_DEP_1)
	v_min_i32_e32 v24, v36, v24
	s_and_saveexec_b32 s10, s18
	s_cbranch_execz .LBB4_618
; %bb.611:                              ;   in Loop: Header=BB4_458 Depth=1
	v_and_b32_e32 v25, 0x100, v38
	s_waitcnt lgkmcnt(0)
	v_and_b32_e32 v32, 7, v8
	s_mov_b32 s19, 0
	s_mov_b32 s18, exec_lo
                                        ; implicit-def: $vgpr34_vgpr35
	v_cmpx_ne_u32_e32 0, v25
	s_xor_b32 s18, exec_lo, s18
	s_cbranch_execnz .LBB4_626
; %bb.612:                              ;   in Loop: Header=BB4_458 Depth=1
	s_and_not1_saveexec_b32 s18, s18
	s_cbranch_execnz .LBB4_629
.LBB4_613:                              ;   in Loop: Header=BB4_458 Depth=1
	s_or_b32 exec_lo, exec_lo, s18
	s_and_saveexec_b32 s18, s19
.LBB4_614:                              ;   in Loop: Header=BB4_458 Depth=1
	v_mul_lo_u32 v25, v26, v48
	v_mul_lo_u32 v33, v32, v49
	v_mad_u64_u32 v[34:35], null, v32, v48, 0
	s_delay_alu instid0(VALU_DEP_1)
	v_add3_u32 v35, v35, v33, v25
.LBB4_615:                              ;   in Loop: Header=BB4_458 Depth=1
	s_or_b32 exec_lo, exec_lo, s18
	s_delay_alu instid0(VALU_DEP_1) | instskip(SKIP_2) | instid1(VALU_DEP_2)
	v_lshlrev_b64 v[32:33], 2, v[34:35]
	v_and_b32_e32 v25, 0x2000, v38
	s_mov_b32 s18, exec_lo
	v_add_co_u32 v32, vcc_lo, v18, v32
	s_delay_alu instid0(VALU_DEP_3)
	v_add_co_ci_u32_e32 v33, vcc_lo, v19, v33, vcc_lo
	ds_store_b64 v0, v[32:33] offset:784
	v_cmpx_ne_u32_e32 0, v25
	s_cbranch_execz .LBB4_617
; %bb.616:                              ;   in Loop: Header=BB4_458 Depth=1
	ds_load_b64 v[32:33], v0 offset:584
	s_waitcnt lgkmcnt(0)
	v_add_co_u32 v32, vcc_lo, v32, 1
	v_add_co_ci_u32_e32 v33, vcc_lo, 0, v33, vcc_lo
	ds_store_b64 v0, v[32:33] offset:584
.LBB4_617:                              ;   in Loop: Header=BB4_458 Depth=1
	s_or_b32 exec_lo, exec_lo, s18
	v_add_co_u32 v8, vcc_lo, v8, 1
	v_add_co_ci_u32_e32 v9, vcc_lo, 0, v9, vcc_lo
.LBB4_618:                              ;   in Loop: Header=BB4_458 Depth=1
	s_or_b32 exec_lo, exec_lo, s10
	s_and_saveexec_b32 s10, s2
	s_cbranch_execz .LBB4_644
; %bb.619:                              ;   in Loop: Header=BB4_458 Depth=1
	s_and_saveexec_b32 s18, s3
	s_delay_alu instid0(SALU_CYCLE_1)
	s_xor_b32 s18, exec_lo, s18
	s_cbranch_execz .LBB4_641
; %bb.620:                              ;   in Loop: Header=BB4_458 Depth=1
	s_and_saveexec_b32 s19, s4
	s_cbranch_execz .LBB4_640
; %bb.621:                              ;   in Loop: Header=BB4_458 Depth=1
	s_mov_b32 s21, exec_lo
	s_mov_b32 s20, exec_lo
	v_mbcnt_lo_u32_b32 v25, s21, 0
	s_waitcnt lgkmcnt(0)
	s_waitcnt_vscnt null, 0x0
	buffer_gl1_inv
	buffer_gl0_inv
	v_cmpx_eq_u32_e32 0, v25
	s_cbranch_execz .LBB4_623
; %bb.622:                              ;   in Loop: Header=BB4_458 Depth=1
	s_bcnt1_i32_b32 s21, s21
	s_delay_alu instid0(SALU_CYCLE_1)
	v_mov_b32_e32 v25, s21
	ds_add_u64 v0, v[25:26]
	s_cbranch_execnz .LBB4_794
.LBB4_623:                              ;   in Loop: Header=BB4_458 Depth=1
	s_or_b32 exec_lo, exec_lo, s20
	s_cbranch_execnz .LBB4_782
; %bb.624:                              ;   in Loop: Header=BB4_458 Depth=1
	ds_load_b64 v[32:33], v0
	v_add_co_u32 v10, vcc_lo, v10, v50
	v_add_co_ci_u32_e32 v11, vcc_lo, 0, v11, vcc_lo
	s_mov_b32 s20, exec_lo
	s_waitcnt lgkmcnt(0)
	s_delay_alu instid0(VALU_DEP_1)
	v_cmpx_lt_u64_e64 v[32:33], v[10:11]
	s_cbranch_execz .LBB4_639
; %bb.625:                              ;   in Loop: Header=BB4_458 Depth=1
	s_mov_b32 s21, 0
	s_mov_b32 s24, 0
                                        ; implicit-def: $sgpr22
                                        ; implicit-def: $sgpr23
	s_branch .LBB4_631
.LBB4_626:                              ;   in Loop: Header=BB4_458 Depth=1
	v_mad_u64_u32 v[36:37], null, v32, 24, v[6:7]
	v_ashrrev_i32_e32 v25, 31, v24
	s_mov_b32 s19, -1
	s_delay_alu instid0(VALU_DEP_1)
	v_lshlrev_b64 v[33:34], 2, v[24:25]
	flat_load_b32 v35, v[36:37]
	flat_store_b64 v[36:37], v[33:34] offset:8
	s_waitcnt vmcnt(0) lgkmcnt(1)
	v_cmp_eq_u32_e32 vcc_lo, 1, v35
                                        ; implicit-def: $vgpr34_vgpr35
	s_and_saveexec_b32 s20, vcc_lo
	s_cbranch_execz .LBB4_628
; %bb.627:                              ;   in Loop: Header=BB4_458 Depth=1
	flat_load_b32 v32, v[36:37] offset:4 glc
	s_xor_b32 s19, exec_lo, -1
	s_waitcnt vmcnt(0) lgkmcnt(0)
	v_ashrrev_i32_e32 v33, 31, v32
	s_delay_alu instid0(VALU_DEP_1)
	v_lshrrev_b64 v[34:35], 2, v[32:33]
                                        ; implicit-def: $vgpr32_vgpr33
.LBB4_628:                              ;   in Loop: Header=BB4_458 Depth=1
	s_or_b32 exec_lo, exec_lo, s20
	s_delay_alu instid0(SALU_CYCLE_1)
	s_and_b32 s19, s19, exec_lo
	s_and_not1_saveexec_b32 s18, s18
	s_cbranch_execz .LBB4_613
.LBB4_629:                              ;   in Loop: Header=BB4_458 Depth=1
	s_or_b32 s19, s19, exec_lo
                                        ; implicit-def: $vgpr34_vgpr35
	s_or_b32 exec_lo, exec_lo, s18
	s_and_saveexec_b32 s18, s19
	s_cbranch_execnz .LBB4_614
	s_branch .LBB4_615
.LBB4_630:                              ;   in Loop: Header=BB4_631 Depth=2
	s_or_b32 exec_lo, exec_lo, s27
	s_delay_alu instid0(SALU_CYCLE_1) | instskip(NEXT) | instid1(SALU_CYCLE_1)
	s_and_b32 s25, exec_lo, s26
	s_or_b32 s21, s25, s21
	s_and_not1_b32 s22, s22, exec_lo
	s_and_b32 s25, s23, exec_lo
	s_delay_alu instid0(SALU_CYCLE_1)
	s_or_b32 s22, s22, s25
	s_and_not1_b32 exec_lo, exec_lo, s21
	s_cbranch_execz .LBB4_637
.LBB4_631:                              ;   Parent Loop BB4_458 Depth=1
                                        ; =>  This Inner Loop Header: Depth=2
	s_add_i32 s24, s24, 1
                                        ; implicit-def: $sgpr26
	s_delay_alu instid0(SALU_CYCLE_1) | instskip(SKIP_1) | instid1(SALU_CYCLE_1)
	s_cmpk_lg_i32 s24, 0x2710
	s_cselect_b32 s25, -1, 0
	s_and_b32 vcc_lo, exec_lo, s25
	s_cbranch_vccz .LBB4_635
.LBB4_632:                              ;   in Loop: Header=BB4_631 Depth=2
	s_and_not1_b32 s23, s23, exec_lo
	s_and_b32 s27, s26, exec_lo
	s_mov_b32 s26, -1
	s_or_b32 s23, s23, s27
	s_and_saveexec_b32 s27, s25
	s_cbranch_execz .LBB4_630
; %bb.633:                              ;   in Loop: Header=BB4_631 Depth=2
	s_sleep 1
	s_cbranch_execnz .LBB4_830
; %bb.634:                              ;   in Loop: Header=BB4_631 Depth=2
	ds_load_b64 v[32:33], v0
	s_and_not1_b32 s23, s23, exec_lo
	s_waitcnt lgkmcnt(0)
	v_cmp_ge_u64_e32 vcc_lo, v[32:33], v[10:11]
	s_or_not1_b32 s26, vcc_lo, exec_lo
	s_branch .LBB4_630
.LBB4_635:                              ;   in Loop: Header=BB4_631 Depth=2
	s_cbranch_execnz .LBB4_834
; %bb.636:                              ;   in Loop: Header=BB4_631 Depth=2
	ds_load_b64 v[32:33], v0
	s_and_not1_b32 s25, s25, exec_lo
	s_mov_b32 s24, 0
	s_mov_b32 s26, -1
	s_waitcnt lgkmcnt(0)
	flat_load_b32 v25, v[32:33] glc
	s_waitcnt vmcnt(0) lgkmcnt(0)
	buffer_gl1_inv
	buffer_gl0_inv
	v_cmp_eq_u32_e32 vcc_lo, 0, v25
	s_and_b32 s27, vcc_lo, exec_lo
	s_delay_alu instid0(SALU_CYCLE_1)
	s_or_b32 s25, s25, s27
	s_branch .LBB4_632
.LBB4_637:                              ;   in Loop: Header=BB4_458 Depth=1
	s_or_b32 exec_lo, exec_lo, s21
	s_and_saveexec_b32 s21, s22
	s_delay_alu instid0(SALU_CYCLE_1)
	s_xor_b32 s21, exec_lo, s21
	s_cbranch_execz .LBB4_639
; %bb.638:                              ;   in Loop: Header=BB4_458 Depth=1
	ds_store_b32 v0, v71
	s_cbranch_execnz .LBB4_924
.LBB4_639:                              ;   in Loop: Header=BB4_458 Depth=1
	s_or_b32 exec_lo, exec_lo, s20
	;;#ASMSTART
	s_wakeup
	;;#ASMEND
.LBB4_640:                              ;   in Loop: Header=BB4_458 Depth=1
	s_or_b32 exec_lo, exec_lo, s19
.LBB4_641:                              ;   in Loop: Header=BB4_458 Depth=1
	s_and_not1_saveexec_b32 s18, s18
	s_cbranch_execz .LBB4_643
; %bb.642:                              ;   in Loop: Header=BB4_458 Depth=1
	s_waitcnt lgkmcnt(0)
	s_waitcnt_vscnt null, 0x0
	buffer_gl1_inv
	buffer_gl0_inv
	s_barrier
.LBB4_643:                              ;   in Loop: Header=BB4_458 Depth=1
	s_or_b32 exec_lo, exec_lo, s18
.LBB4_644:                              ;   in Loop: Header=BB4_458 Depth=1
	s_delay_alu instid0(SALU_CYCLE_1)
	s_or_b32 exec_lo, exec_lo, s10
	s_cbranch_execnz .LBB4_727
; %bb.645:                              ;   in Loop: Header=BB4_458 Depth=1
	ds_load_b32 v25, v0
	v_cmp_lt_i32_e32 vcc_lo, 0, v24
	s_waitcnt lgkmcnt(0)
	v_readfirstlane_b32 s10, v25
	v_and_b32_e32 v25, 16, v38
	s_delay_alu instid0(VALU_DEP_2) | instskip(NEXT) | instid1(VALU_DEP_1)
	s_cmp_eq_u32 s10, 0
	v_cmp_ne_u32_e64 s10, 0, v25
	s_cselect_b32 s18, -1, 0
	s_delay_alu instid0(SALU_CYCLE_1)
	s_and_b32 s18, vcc_lo, s18
	s_delay_alu instid0(VALU_DEP_1) | instid1(SALU_CYCLE_1)
	s_and_b32 s18, s10, s18
	s_delay_alu instid0(SALU_CYCLE_1)
	s_and_saveexec_b32 s10, s18
	s_cbranch_execz .LBB4_647
; %bb.646:                              ;   in Loop: Header=BB4_458 Depth=1
	s_waitcnt_vscnt null, 0x0
	buffer_gl1_inv
	buffer_gl0_inv
.LBB4_647:                              ;   in Loop: Header=BB4_458 Depth=1
	s_or_b32 exec_lo, exec_lo, s10
	s_delay_alu instid0(SALU_CYCLE_1)
	s_mov_b32 s10, exec_lo
	v_cmpx_ne_u32_e32 0, v25
	s_cbranch_execz .LBB4_651
; %bb.648:                              ;   in Loop: Header=BB4_458 Depth=1
	s_and_saveexec_b32 s18, s7
	s_cbranch_execz .LBB4_650
; %bb.649:                              ;   in Loop: Header=BB4_458 Depth=1
	s_waitcnt_vscnt null, 0x0
	flat_store_b32 v[22:23], v71
.LBB4_650:                              ;   in Loop: Header=BB4_458 Depth=1
	s_or_b32 exec_lo, exec_lo, s18
	v_add_co_u32 v8, vcc_lo, v8, 1
	v_add_co_ci_u32_e32 v9, vcc_lo, 0, v9, vcc_lo
	s_waitcnt lgkmcnt(0)
	s_waitcnt_vscnt null, 0x0
	flat_store_b64 v[16:17], v[8:9]
.LBB4_651:                              ;   in Loop: Header=BB4_458 Depth=1
	s_or_b32 exec_lo, exec_lo, s10
.LBB4_652:                              ;   in Loop: Header=BB4_458 Depth=1
	s_delay_alu instid0(SALU_CYCLE_1) | instskip(SKIP_2) | instid1(VALU_DEP_1)
	s_or_b32 exec_lo, exec_lo, s11
	v_add_co_u32 v27, vcc_lo, v27, v12
	v_add_co_ci_u32_e32 v28, vcc_lo, 0, v28, vcc_lo
	v_cmp_ge_u64_e32 vcc_lo, v[27:28], v[4:5]
	s_or_b32 s14, vcc_lo, s14
	s_delay_alu instid0(SALU_CYCLE_1)
	s_and_not1_b32 exec_lo, exec_lo, s14
	s_cbranch_execnz .LBB4_458
; %bb.653:
	s_or_b32 exec_lo, exec_lo, s14
.LBB4_654:
	s_delay_alu instid0(SALU_CYCLE_1)
	s_or_b32 exec_lo, exec_lo, s15
.LBB4_655:
	s_delay_alu instid0(SALU_CYCLE_1) | instskip(SKIP_2) | instid1(VALU_DEP_1)
	s_or_b32 exec_lo, exec_lo, s12
	v_and_b32_e32 v0, 0x800, v38
	s_mov_b32 s0, exec_lo
	v_cmpx_eq_u32_e32 0, v0
	s_cbranch_execz .LBB4_878
; %bb.656:
	v_and_b32_e32 v0, 48, v38
	s_mov_b32 s1, exec_lo
	s_delay_alu instid0(VALU_DEP_1)
	v_cmpx_ne_u32_e32 0, v0
	s_cbranch_execz .LBB4_658
; %bb.657:
	s_waitcnt lgkmcnt(0)
	flat_store_b64 v[14:15], v[8:9] offset:104
.LBB4_658:
	s_or_b32 exec_lo, exec_lo, s1
	v_and_b32_e32 v0, 0x88, v38
	s_mov_b32 s1, exec_lo
	s_delay_alu instid0(VALU_DEP_1)
	v_cmpx_eq_u32_e32 0x88, v0
	s_cbranch_execz .LBB4_708
; %bb.659:
	s_waitcnt lgkmcnt(0)
	v_add_nc_u32_e32 v0, -1, v8
	s_mov_b32 s2, 0
                                        ; implicit-def: $sgpr3
	s_delay_alu instid0(VALU_DEP_1) | instskip(NEXT) | instid1(VALU_DEP_1)
	v_and_b32_e32 v0, 7, v0
	v_mad_u64_u32 v[4:5], null, v0, 24, v[6:7]
	v_mov_b32_e32 v0, 0
	s_delay_alu instid0(VALU_DEP_2) | instskip(NEXT) | instid1(VALU_DEP_3)
	v_add_co_u32 v4, vcc_lo, v4, 8
	v_add_co_ci_u32_e32 v5, vcc_lo, 0, v5, vcc_lo
	s_branch .LBB4_692
.LBB4_660:
	s_trap 2
	s_sendmsg_rtn_b32 s0, sendmsg(MSG_RTN_GET_DOORBELL)
	s_mov_b32 ttmp2, m0
	s_waitcnt lgkmcnt(0)
	s_and_b32 s0, s0, 0x3ff
	s_delay_alu instid0(SALU_CYCLE_1) | instskip(NEXT) | instid1(SALU_CYCLE_1)
	s_bitset1_b32 s0, 10
	s_mov_b32 m0, s0
	s_sendmsg sendmsg(MSG_INTERRUPT)
	s_mov_b32 m0, ttmp2
.LBB4_661:                              ; =>This Inner Loop Header: Depth=1
	s_sethalt 5
	s_branch .LBB4_661
.LBB4_662:
	v_bfe_u32 v10, v6, 8, 8
	v_not_b32_e32 v8, v8
	s_mov_b32 s1, exec_lo
                                        ; implicit-def: $vgpr29_vgpr30
                                        ; implicit-def: $vgpr4_vgpr5
                                        ; implicit-def: $vgpr24_vgpr25
	s_delay_alu instid0(VALU_DEP_2)
	v_cmpx_ne_u32_e64 v10, v9
	s_xor_b32 s1, exec_lo, s1
	s_cbranch_execz .LBB4_664
; %bb.663:
	s_clause 0x1
	flat_load_b128 v[4:7], v[2:3] offset:72
	flat_load_b64 v[10:11], v[2:3] offset:96
	v_add_nc_u32_e32 v8, v9, v8
	s_delay_alu instid0(VALU_DEP_1) | instskip(SKIP_1) | instid1(VALU_DEP_1)
	v_ashrrev_i32_e32 v9, 31, v8
	s_waitcnt vmcnt(1) lgkmcnt(1)
	v_mul_lo_u32 v9, v6, v9
	v_mad_u64_u32 v[24:25], null, v6, v8, v[4:5]
	v_mul_lo_u32 v4, v7, v8
	s_waitcnt vmcnt(0) lgkmcnt(0)
	v_lshrrev_b64 v[29:30], 14, v[10:11]
                                        ; implicit-def: $vgpr10
                                        ; implicit-def: $vgpr8
	s_delay_alu instid0(VALU_DEP_2)
	v_add3_u32 v25, v4, v25, v9
	v_dual_mov_b32 v4, v6 :: v_dual_mov_b32 v5, v7
.LBB4_664:
	s_and_not1_saveexec_b32 s1, s1
	s_cbranch_execz .LBB4_666
; %bb.665:
	s_clause 0x1
	flat_load_b128 v[11:14], v[2:3] offset:72
	flat_load_b128 v[4:7], v[2:3] offset:88
	s_waitcnt vmcnt(0) lgkmcnt(0)
	v_add_nc_u32_e32 v6, v10, v8
	s_delay_alu instid0(VALU_DEP_1) | instskip(NEXT) | instid1(VALU_DEP_1)
	v_ashrrev_i32_e32 v8, 31, v6
	v_mul_lo_u32 v8, v13, v8
	v_mad_u64_u32 v[24:25], null, v13, v6, v[11:12]
	v_mul_lo_u32 v6, v14, v6
	v_lshrrev_b32_e32 v29, 3, v7
	s_delay_alu instid0(VALU_DEP_2)
	v_add3_u32 v25, v6, v25, v8
.LBB4_666:
	s_or_b32 exec_lo, exec_lo, s1
	s_and_not1_saveexec_b32 s0, s0
	s_cbranch_execz .LBB4_3
.LBB4_667:
	s_clause 0x1
	flat_load_b64 v[6:7], v[2:3] offset:96
	flat_load_b64 v[4:5], v[2:3] offset:72
	v_mov_b32_e32 v24, 0
	v_mov_b32_e32 v25, 0
	s_waitcnt vmcnt(1) lgkmcnt(1)
	v_lshlrev_b64 v[29:30], 7, v[6:7]
	s_or_b32 exec_lo, exec_lo, s0
	s_cbranch_execz .LBB4_4
.LBB4_668:
	s_trap 2
	s_sendmsg_rtn_b32 s0, sendmsg(MSG_RTN_GET_DOORBELL)
	s_mov_b32 ttmp2, m0
	s_waitcnt lgkmcnt(0)
	s_and_b32 s0, s0, 0x3ff
	s_delay_alu instid0(SALU_CYCLE_1) | instskip(NEXT) | instid1(SALU_CYCLE_1)
	s_bitset1_b32 s0, 10
	s_mov_b32 m0, s0
	s_sendmsg sendmsg(MSG_INTERRUPT)
	s_mov_b32 m0, ttmp2
.LBB4_669:                              ; =>This Inner Loop Header: Depth=1
	s_sethalt 5
	s_branch .LBB4_669
.LBB4_670:
	s_trap 2
	s_sendmsg_rtn_b32 s0, sendmsg(MSG_RTN_GET_DOORBELL)
	s_mov_b32 ttmp2, m0
	s_waitcnt lgkmcnt(0)
	s_and_b32 s0, s0, 0x3ff
	s_delay_alu instid0(SALU_CYCLE_1) | instskip(NEXT) | instid1(SALU_CYCLE_1)
	s_bitset1_b32 s0, 10
	s_mov_b32 m0, s0
	s_sendmsg sendmsg(MSG_INTERRUPT)
	s_mov_b32 m0, ttmp2
.LBB4_671:                              ; =>This Inner Loop Header: Depth=1
	s_sethalt 5
	s_branch .LBB4_671
.LBB4_672:
	s_trap 2
	s_sendmsg_rtn_b32 s0, sendmsg(MSG_RTN_GET_DOORBELL)
	s_mov_b32 ttmp2, m0
	s_waitcnt lgkmcnt(0)
	s_and_b32 s0, s0, 0x3ff
	s_delay_alu instid0(SALU_CYCLE_1) | instskip(NEXT) | instid1(SALU_CYCLE_1)
	s_bitset1_b32 s0, 10
	s_mov_b32 m0, s0
	s_sendmsg sendmsg(MSG_INTERRUPT)
	s_mov_b32 m0, ttmp2
.LBB4_673:                              ; =>This Inner Loop Header: Depth=1
	s_sethalt 5
	s_branch .LBB4_673
.LBB4_674:
	s_trap 2
	s_sendmsg_rtn_b32 s0, sendmsg(MSG_RTN_GET_DOORBELL)
	s_mov_b32 ttmp2, m0
	s_waitcnt lgkmcnt(0)
	s_and_b32 s0, s0, 0x3ff
	s_delay_alu instid0(SALU_CYCLE_1) | instskip(NEXT) | instid1(SALU_CYCLE_1)
	s_bitset1_b32 s0, 10
	s_mov_b32 m0, s0
	s_sendmsg sendmsg(MSG_INTERRUPT)
	s_mov_b32 m0, ttmp2
.LBB4_675:                              ; =>This Inner Loop Header: Depth=1
	s_sethalt 5
	s_branch .LBB4_675
.LBB4_676:
	s_trap 2
	s_sendmsg_rtn_b32 s0, sendmsg(MSG_RTN_GET_DOORBELL)
	s_mov_b32 ttmp2, m0
	s_waitcnt lgkmcnt(0)
	s_and_b32 s0, s0, 0x3ff
	s_delay_alu instid0(SALU_CYCLE_1) | instskip(NEXT) | instid1(SALU_CYCLE_1)
	s_bitset1_b32 s0, 10
	s_mov_b32 m0, s0
	s_sendmsg sendmsg(MSG_INTERRUPT)
	s_mov_b32 m0, ttmp2
.LBB4_677:                              ; =>This Inner Loop Header: Depth=1
	s_sethalt 5
	s_branch .LBB4_677
.LBB4_678:
	s_trap 2
	s_sendmsg_rtn_b32 s0, sendmsg(MSG_RTN_GET_DOORBELL)
	s_mov_b32 ttmp2, m0
	s_waitcnt lgkmcnt(0)
	s_and_b32 s0, s0, 0x3ff
	s_delay_alu instid0(SALU_CYCLE_1) | instskip(NEXT) | instid1(SALU_CYCLE_1)
	s_bitset1_b32 s0, 10
	s_mov_b32 m0, s0
	s_sendmsg sendmsg(MSG_INTERRUPT)
	s_mov_b32 m0, ttmp2
.LBB4_679:                              ; =>This Inner Loop Header: Depth=1
	s_sethalt 5
	s_branch .LBB4_679
.LBB4_680:
	s_trap 2
	s_sendmsg_rtn_b32 s0, sendmsg(MSG_RTN_GET_DOORBELL)
	s_mov_b32 ttmp2, m0
	s_waitcnt lgkmcnt(0)
	s_and_b32 s0, s0, 0x3ff
	s_delay_alu instid0(SALU_CYCLE_1) | instskip(NEXT) | instid1(SALU_CYCLE_1)
	s_bitset1_b32 s0, 10
	s_mov_b32 m0, s0
	s_sendmsg sendmsg(MSG_INTERRUPT)
	s_mov_b32 m0, ttmp2
.LBB4_681:                              ; =>This Inner Loop Header: Depth=1
	s_sethalt 5
	s_branch .LBB4_681
.LBB4_682:
	s_trap 2
	s_sendmsg_rtn_b32 s0, sendmsg(MSG_RTN_GET_DOORBELL)
	s_mov_b32 ttmp2, m0
	s_waitcnt lgkmcnt(0)
	s_and_b32 s0, s0, 0x3ff
	s_delay_alu instid0(SALU_CYCLE_1) | instskip(NEXT) | instid1(SALU_CYCLE_1)
	s_bitset1_b32 s0, 10
	s_mov_b32 m0, s0
	s_sendmsg sendmsg(MSG_INTERRUPT)
	s_mov_b32 m0, ttmp2
.LBB4_683:                              ; =>This Inner Loop Header: Depth=1
	s_sethalt 5
	s_branch .LBB4_683
.LBB4_684:
	s_trap 2
	s_sendmsg_rtn_b32 s0, sendmsg(MSG_RTN_GET_DOORBELL)
	s_mov_b32 ttmp2, m0
	s_waitcnt lgkmcnt(0)
	s_and_b32 s0, s0, 0x3ff
	s_delay_alu instid0(SALU_CYCLE_1) | instskip(NEXT) | instid1(SALU_CYCLE_1)
	s_bitset1_b32 s0, 10
	s_mov_b32 m0, s0
	s_sendmsg sendmsg(MSG_INTERRUPT)
	s_mov_b32 m0, ttmp2
.LBB4_685:                              ; =>This Inner Loop Header: Depth=1
	s_sethalt 5
	s_branch .LBB4_685
.LBB4_686:
	s_trap 2
	s_sendmsg_rtn_b32 s0, sendmsg(MSG_RTN_GET_DOORBELL)
	s_mov_b32 ttmp2, m0
	s_waitcnt lgkmcnt(0)
	s_and_b32 s0, s0, 0x3ff
	s_delay_alu instid0(SALU_CYCLE_1) | instskip(NEXT) | instid1(SALU_CYCLE_1)
	s_bitset1_b32 s0, 10
	s_mov_b32 m0, s0
	s_sendmsg sendmsg(MSG_INTERRUPT)
	s_mov_b32 m0, ttmp2
.LBB4_687:                              ; =>This Inner Loop Header: Depth=1
	s_sethalt 5
	s_branch .LBB4_687
.LBB4_688:                              ;   in Loop: Header=BB4_692 Depth=1
	s_or_b32 exec_lo, exec_lo, s10
	v_mov_b32_e32 v6, 0
	s_or_not1_b32 s7, s7, exec_lo
.LBB4_689:                              ;   in Loop: Header=BB4_692 Depth=1
	s_or_b32 exec_lo, exec_lo, s6
	s_delay_alu instid0(VALU_DEP_1)
	v_mov_b32_e32 v0, v6
	s_and_b32 s6, s7, exec_lo
.LBB4_690:                              ;   in Loop: Header=BB4_692 Depth=1
	s_or_b32 exec_lo, exec_lo, s5
	s_xor_b32 s5, s6, -1
	s_and_not1_b32 s3, s3, exec_lo
	s_and_b32 s5, s5, exec_lo
	s_delay_alu instid0(SALU_CYCLE_1)
	s_or_b32 s3, s3, s5
.LBB4_691:                              ;   in Loop: Header=BB4_692 Depth=1
	s_or_b32 exec_lo, exec_lo, s4
	s_delay_alu instid0(SALU_CYCLE_1) | instskip(NEXT) | instid1(SALU_CYCLE_1)
	s_and_b32 s4, exec_lo, s3
	s_or_b32 s2, s4, s2
	s_delay_alu instid0(SALU_CYCLE_1)
	s_and_not1_b32 exec_lo, exec_lo, s2
	s_cbranch_execz .LBB4_707
.LBB4_692:                              ; =>This Inner Loop Header: Depth=1
	flat_load_b64 v[6:7], v[4:5] glc dlc
	s_waitcnt vmcnt(0)
	s_or_b32 s3, s3, exec_lo
	s_mov_b32 s4, exec_lo
	s_waitcnt lgkmcnt(0)
	v_cmpx_ne_u64_e32 -1, v[6:7]
	s_cbranch_execz .LBB4_691
; %bb.693:                              ;   in Loop: Header=BB4_692 Depth=1
	v_and_b32_e32 v6, 64, v38
	s_mov_b32 s6, 0
	s_mov_b32 s5, exec_lo
	s_delay_alu instid0(VALU_DEP_1)
	v_cmpx_eq_u32_e32 0, v6
	s_cbranch_execz .LBB4_690
; %bb.694:                              ;   in Loop: Header=BB4_692 Depth=1
	v_add_nc_u32_e32 v6, 1, v0
	s_mov_b32 s7, -1
	s_mov_b32 s6, exec_lo
	v_cmpx_lt_i32_e32 0x270e, v0
	s_cbranch_execz .LBB4_689
; %bb.695:                              ;   in Loop: Header=BB4_692 Depth=1
	s_cbranch_execnz .LBB4_699
; %bb.696:                              ;   in Loop: Header=BB4_692 Depth=1
	ds_load_b64 v[6:7], v0
	s_mov_b32 s10, exec_lo
	s_waitcnt lgkmcnt(0)
	s_waitcnt_vscnt null, 0x0
	flat_load_b32 v0, v[6:7] glc
	s_waitcnt vmcnt(0) lgkmcnt(0)
	buffer_gl1_inv
	buffer_gl0_inv
	v_cmpx_ne_u32_e32 0, v0
	s_cbranch_execz .LBB4_688
; %bb.697:                              ;   in Loop: Header=BB4_692 Depth=1
	ds_store_b32 v0, v0
	s_cbranch_execnz .LBB4_721
; %bb.698:                              ;   in Loop: Header=BB4_692 Depth=1
	v_or_b32_e32 v38, 64, v38
	s_xor_b32 s7, exec_lo, -1
	s_branch .LBB4_688
.LBB4_699:
	s_trap 2
	s_sendmsg_rtn_b32 s0, sendmsg(MSG_RTN_GET_DOORBELL)
	s_mov_b32 ttmp2, m0
	s_waitcnt lgkmcnt(0)
	s_and_b32 s0, s0, 0x3ff
	s_delay_alu instid0(SALU_CYCLE_1) | instskip(NEXT) | instid1(SALU_CYCLE_1)
	s_bitset1_b32 s0, 10
	s_mov_b32 m0, s0
	s_sendmsg sendmsg(MSG_INTERRUPT)
	s_mov_b32 m0, ttmp2
.LBB4_700:                              ; =>This Inner Loop Header: Depth=1
	s_sethalt 5
	s_branch .LBB4_700
.LBB4_701:
	s_trap 2
	s_sendmsg_rtn_b32 s0, sendmsg(MSG_RTN_GET_DOORBELL)
	s_mov_b32 ttmp2, m0
	s_waitcnt lgkmcnt(0)
	s_and_b32 s0, s0, 0x3ff
	s_delay_alu instid0(SALU_CYCLE_1) | instskip(NEXT) | instid1(SALU_CYCLE_1)
	s_bitset1_b32 s0, 10
	s_mov_b32 m0, s0
	s_sendmsg sendmsg(MSG_INTERRUPT)
	s_mov_b32 m0, ttmp2
.LBB4_702:                              ; =>This Inner Loop Header: Depth=1
	s_sethalt 5
	s_branch .LBB4_702
.LBB4_703:
	s_trap 2
	s_sendmsg_rtn_b32 s0, sendmsg(MSG_RTN_GET_DOORBELL)
	s_mov_b32 ttmp2, m0
	s_waitcnt lgkmcnt(0)
	s_and_b32 s0, s0, 0x3ff
	s_delay_alu instid0(SALU_CYCLE_1) | instskip(NEXT) | instid1(SALU_CYCLE_1)
	s_bitset1_b32 s0, 10
	s_mov_b32 m0, s0
	s_sendmsg sendmsg(MSG_INTERRUPT)
	s_mov_b32 m0, ttmp2
.LBB4_704:                              ; =>This Inner Loop Header: Depth=1
	s_sethalt 5
	s_branch .LBB4_704
.LBB4_705:
	s_trap 2
	s_sendmsg_rtn_b32 s0, sendmsg(MSG_RTN_GET_DOORBELL)
	s_mov_b32 ttmp2, m0
	s_waitcnt lgkmcnt(0)
	s_and_b32 s0, s0, 0x3ff
	s_delay_alu instid0(SALU_CYCLE_1) | instskip(NEXT) | instid1(SALU_CYCLE_1)
	s_bitset1_b32 s0, 10
	s_mov_b32 m0, s0
	s_sendmsg sendmsg(MSG_INTERRUPT)
	s_mov_b32 m0, ttmp2
.LBB4_706:                              ; =>This Inner Loop Header: Depth=1
	s_sethalt 5
	s_branch .LBB4_706
.LBB4_707:
	s_or_b32 exec_lo, exec_lo, s2
.LBB4_708:
	s_delay_alu instid0(SALU_CYCLE_1) | instskip(SKIP_2) | instid1(VALU_DEP_1)
	s_or_b32 exec_lo, exec_lo, s1
	v_and_b32_e32 v0, 0x2000, v38
	s_mov_b32 s1, exec_lo
	v_cmpx_ne_u32_e32 0, v0
	s_cbranch_execz .LBB4_711
; %bb.709:
	s_cbranch_execnz .LBB4_719
; %bb.710:
	ds_load_b64 v[4:5], v0
	s_waitcnt lgkmcnt(0)
	flat_store_b64 v[2:3], v[4:5] offset:16
.LBB4_711:
	s_or_b32 exec_lo, exec_lo, s1
	v_cmp_ne_u32_e32 vcc_lo, 32, v1
	s_and_b32 exec_lo, exec_lo, vcc_lo
	s_cbranch_execz .LBB4_878
; %bb.712:
	s_mov_b32 s1, exec_lo
	v_cmpx_ne_u32_e64 v39, v1
	s_xor_b32 s1, exec_lo, s1
	s_cbranch_execz .LBB4_876
; %bb.713:
	v_and_b32_e32 v0, 31, v31
	s_mov_b32 s2, exec_lo
	s_delay_alu instid0(VALU_DEP_1)
	v_cmpx_eq_u32_e32 0, v0
	s_cbranch_execz .LBB4_875
; %bb.714:
	s_mov_b32 s4, exec_lo
	s_mov_b32 s3, exec_lo
	v_mbcnt_lo_u32_b32 v0, s4, 0
	s_waitcnt lgkmcnt(0)
	s_waitcnt_vscnt null, 0x0
	buffer_gl1_inv
	buffer_gl0_inv
	v_cmpx_eq_u32_e32 0, v0
	s_cbranch_execz .LBB4_716
; %bb.715:
	s_bcnt1_i32_b32 s4, s4
	s_delay_alu instid0(SALU_CYCLE_1)
	v_dual_mov_b32 v3, 0 :: v_dual_mov_b32 v2, s4
	ds_add_u64 v0, v[2:3]
	s_cbranch_execnz .LBB4_764
.LBB4_716:
	s_or_b32 exec_lo, exec_lo, s3
	s_cbranch_execnz .LBB4_749
; %bb.717:
	v_ashrrev_i32_e32 v0, 31, v1
	s_mov_b32 s3, exec_lo
	s_delay_alu instid0(VALU_DEP_1) | instskip(NEXT) | instid1(VALU_DEP_1)
	v_lshrrev_b32_e32 v0, 27, v0
	v_add_nc_u32_e32 v0, v1, v0
	ds_load_b64 v[2:3], v0
	v_ashrrev_i32_e32 v0, 5, v0
	s_delay_alu instid0(VALU_DEP_1) | instskip(SKIP_1) | instid1(VALU_DEP_2)
	v_ashrrev_i32_e32 v1, 31, v0
	v_add_co_u32 v0, vcc_lo, v10, v0
	v_add_co_ci_u32_e32 v1, vcc_lo, v11, v1, vcc_lo
	s_waitcnt lgkmcnt(0)
	s_delay_alu instid0(VALU_DEP_1)
	v_cmpx_lt_u64_e64 v[2:3], v[0:1]
	s_cbranch_execz .LBB4_874
; %bb.718:
	s_mov_b32 s4, 0
	s_mov_b32 s7, 0
                                        ; implicit-def: $sgpr5
                                        ; implicit-def: $sgpr6
	s_branch .LBB4_754
.LBB4_719:
	s_trap 2
	s_sendmsg_rtn_b32 s0, sendmsg(MSG_RTN_GET_DOORBELL)
	s_mov_b32 ttmp2, m0
	s_waitcnt lgkmcnt(0)
	s_and_b32 s0, s0, 0x3ff
	s_delay_alu instid0(SALU_CYCLE_1) | instskip(NEXT) | instid1(SALU_CYCLE_1)
	s_bitset1_b32 s0, 10
	s_mov_b32 m0, s0
	s_sendmsg sendmsg(MSG_INTERRUPT)
	s_mov_b32 m0, ttmp2
.LBB4_720:                              ; =>This Inner Loop Header: Depth=1
	s_sethalt 5
	s_branch .LBB4_720
.LBB4_721:
	s_trap 2
	s_sendmsg_rtn_b32 s0, sendmsg(MSG_RTN_GET_DOORBELL)
	s_mov_b32 ttmp2, m0
	s_waitcnt lgkmcnt(0)
	s_and_b32 s0, s0, 0x3ff
	s_delay_alu instid0(SALU_CYCLE_1) | instskip(NEXT) | instid1(SALU_CYCLE_1)
	s_bitset1_b32 s0, 10
	s_mov_b32 m0, s0
	s_sendmsg sendmsg(MSG_INTERRUPT)
	s_mov_b32 m0, ttmp2
.LBB4_722:                              ; =>This Inner Loop Header: Depth=1
	s_sethalt 5
	s_branch .LBB4_722
.LBB4_723:
	s_trap 2
	s_sendmsg_rtn_b32 s0, sendmsg(MSG_RTN_GET_DOORBELL)
	s_mov_b32 ttmp2, m0
	s_waitcnt lgkmcnt(0)
	s_and_b32 s0, s0, 0x3ff
	s_delay_alu instid0(SALU_CYCLE_1) | instskip(NEXT) | instid1(SALU_CYCLE_1)
	s_bitset1_b32 s0, 10
	s_mov_b32 m0, s0
	s_sendmsg sendmsg(MSG_INTERRUPT)
	s_mov_b32 m0, ttmp2
.LBB4_724:                              ; =>This Inner Loop Header: Depth=1
	s_sethalt 5
	s_branch .LBB4_724
.LBB4_725:
	s_trap 2
	s_sendmsg_rtn_b32 s0, sendmsg(MSG_RTN_GET_DOORBELL)
	s_mov_b32 ttmp2, m0
	s_waitcnt lgkmcnt(0)
	s_and_b32 s0, s0, 0x3ff
	s_delay_alu instid0(SALU_CYCLE_1) | instskip(NEXT) | instid1(SALU_CYCLE_1)
	s_bitset1_b32 s0, 10
	s_mov_b32 m0, s0
	s_sendmsg sendmsg(MSG_INTERRUPT)
	s_mov_b32 m0, ttmp2
.LBB4_726:                              ; =>This Inner Loop Header: Depth=1
	s_sethalt 5
	s_branch .LBB4_726
.LBB4_727:
	s_trap 2
	s_sendmsg_rtn_b32 s0, sendmsg(MSG_RTN_GET_DOORBELL)
	s_mov_b32 ttmp2, m0
	s_waitcnt lgkmcnt(0)
	s_and_b32 s0, s0, 0x3ff
	s_delay_alu instid0(SALU_CYCLE_1) | instskip(NEXT) | instid1(SALU_CYCLE_1)
	s_bitset1_b32 s0, 10
	s_mov_b32 m0, s0
	s_sendmsg sendmsg(MSG_INTERRUPT)
	s_mov_b32 m0, ttmp2
.LBB4_728:                              ; =>This Inner Loop Header: Depth=1
	s_sethalt 5
	s_branch .LBB4_728
.LBB4_729:
	s_trap 2
	s_sendmsg_rtn_b32 s0, sendmsg(MSG_RTN_GET_DOORBELL)
	s_mov_b32 ttmp2, m0
	s_waitcnt lgkmcnt(0)
	s_and_b32 s0, s0, 0x3ff
	s_delay_alu instid0(SALU_CYCLE_1) | instskip(NEXT) | instid1(SALU_CYCLE_1)
	s_bitset1_b32 s0, 10
	s_mov_b32 m0, s0
	s_sendmsg sendmsg(MSG_INTERRUPT)
	s_mov_b32 m0, ttmp2
.LBB4_730:                              ; =>This Inner Loop Header: Depth=1
	s_sethalt 5
	s_branch .LBB4_730
.LBB4_731:
	s_trap 2
	s_sendmsg_rtn_b32 s0, sendmsg(MSG_RTN_GET_DOORBELL)
	s_mov_b32 ttmp2, m0
	s_waitcnt lgkmcnt(0)
	s_and_b32 s0, s0, 0x3ff
	s_delay_alu instid0(SALU_CYCLE_1) | instskip(NEXT) | instid1(SALU_CYCLE_1)
	s_bitset1_b32 s0, 10
	s_mov_b32 m0, s0
	s_sendmsg sendmsg(MSG_INTERRUPT)
	s_mov_b32 m0, ttmp2
.LBB4_732:                              ; =>This Inner Loop Header: Depth=1
	s_sethalt 5
	s_branch .LBB4_732
.LBB4_733:
	s_trap 2
	s_sendmsg_rtn_b32 s0, sendmsg(MSG_RTN_GET_DOORBELL)
	s_mov_b32 ttmp2, m0
	s_waitcnt lgkmcnt(0)
	s_and_b32 s0, s0, 0x3ff
	s_delay_alu instid0(SALU_CYCLE_1) | instskip(NEXT) | instid1(SALU_CYCLE_1)
	s_bitset1_b32 s0, 10
	s_mov_b32 m0, s0
	s_sendmsg sendmsg(MSG_INTERRUPT)
	s_mov_b32 m0, ttmp2
.LBB4_734:                              ; =>This Inner Loop Header: Depth=1
	s_sethalt 5
	s_branch .LBB4_734
.LBB4_735:
	s_trap 2
	s_sendmsg_rtn_b32 s0, sendmsg(MSG_RTN_GET_DOORBELL)
	s_mov_b32 ttmp2, m0
	s_waitcnt lgkmcnt(0)
	s_and_b32 s0, s0, 0x3ff
	s_delay_alu instid0(SALU_CYCLE_1) | instskip(NEXT) | instid1(SALU_CYCLE_1)
	s_bitset1_b32 s0, 10
	s_mov_b32 m0, s0
	s_sendmsg sendmsg(MSG_INTERRUPT)
	s_mov_b32 m0, ttmp2
.LBB4_736:                              ; =>This Inner Loop Header: Depth=1
	s_sethalt 5
	s_branch .LBB4_736
.LBB4_737:
	s_trap 2
	s_sendmsg_rtn_b32 s0, sendmsg(MSG_RTN_GET_DOORBELL)
	s_mov_b32 ttmp2, m0
	s_waitcnt lgkmcnt(0)
	s_and_b32 s0, s0, 0x3ff
	s_delay_alu instid0(SALU_CYCLE_1) | instskip(NEXT) | instid1(SALU_CYCLE_1)
	s_bitset1_b32 s0, 10
	s_mov_b32 m0, s0
	s_sendmsg sendmsg(MSG_INTERRUPT)
	s_mov_b32 m0, ttmp2
.LBB4_738:                              ; =>This Inner Loop Header: Depth=1
	s_sethalt 5
	s_branch .LBB4_738
.LBB4_739:
	s_trap 2
	s_sendmsg_rtn_b32 s0, sendmsg(MSG_RTN_GET_DOORBELL)
	s_mov_b32 ttmp2, m0
	s_waitcnt lgkmcnt(0)
	s_and_b32 s0, s0, 0x3ff
	s_delay_alu instid0(SALU_CYCLE_1) | instskip(NEXT) | instid1(SALU_CYCLE_1)
	s_bitset1_b32 s0, 10
	s_mov_b32 m0, s0
	s_sendmsg sendmsg(MSG_INTERRUPT)
	s_mov_b32 m0, ttmp2
.LBB4_740:                              ; =>This Inner Loop Header: Depth=1
	s_sethalt 5
	s_branch .LBB4_740
.LBB4_741:
	s_trap 2
	s_sendmsg_rtn_b32 s0, sendmsg(MSG_RTN_GET_DOORBELL)
	s_mov_b32 ttmp2, m0
	s_waitcnt lgkmcnt(0)
	s_and_b32 s0, s0, 0x3ff
	s_delay_alu instid0(SALU_CYCLE_1) | instskip(NEXT) | instid1(SALU_CYCLE_1)
	s_bitset1_b32 s0, 10
	s_mov_b32 m0, s0
	s_sendmsg sendmsg(MSG_INTERRUPT)
	s_mov_b32 m0, ttmp2
.LBB4_742:                              ; =>This Inner Loop Header: Depth=1
	s_sethalt 5
	s_branch .LBB4_742
.LBB4_743:
	s_trap 2
	s_sendmsg_rtn_b32 s0, sendmsg(MSG_RTN_GET_DOORBELL)
	s_mov_b32 ttmp2, m0
	s_waitcnt lgkmcnt(0)
	s_and_b32 s0, s0, 0x3ff
	s_delay_alu instid0(SALU_CYCLE_1) | instskip(NEXT) | instid1(SALU_CYCLE_1)
	s_bitset1_b32 s0, 10
	s_mov_b32 m0, s0
	s_sendmsg sendmsg(MSG_INTERRUPT)
	s_mov_b32 m0, ttmp2
.LBB4_744:                              ; =>This Inner Loop Header: Depth=1
	s_sethalt 5
	s_branch .LBB4_744
.LBB4_745:
	s_trap 2
	s_sendmsg_rtn_b32 s0, sendmsg(MSG_RTN_GET_DOORBELL)
	s_mov_b32 ttmp2, m0
	s_waitcnt lgkmcnt(0)
	s_and_b32 s0, s0, 0x3ff
	s_delay_alu instid0(SALU_CYCLE_1) | instskip(NEXT) | instid1(SALU_CYCLE_1)
	s_bitset1_b32 s0, 10
	s_mov_b32 m0, s0
	s_sendmsg sendmsg(MSG_INTERRUPT)
	s_mov_b32 m0, ttmp2
.LBB4_746:                              ; =>This Inner Loop Header: Depth=1
	s_sethalt 5
	s_branch .LBB4_746
.LBB4_747:
	s_trap 2
	s_sendmsg_rtn_b32 s0, sendmsg(MSG_RTN_GET_DOORBELL)
	s_mov_b32 ttmp2, m0
	s_waitcnt lgkmcnt(0)
	s_and_b32 s0, s0, 0x3ff
	s_delay_alu instid0(SALU_CYCLE_1) | instskip(NEXT) | instid1(SALU_CYCLE_1)
	s_bitset1_b32 s0, 10
	s_mov_b32 m0, s0
	s_sendmsg sendmsg(MSG_INTERRUPT)
	s_mov_b32 m0, ttmp2
.LBB4_748:                              ; =>This Inner Loop Header: Depth=1
	s_sethalt 5
	s_branch .LBB4_748
.LBB4_749:
	s_trap 2
	s_sendmsg_rtn_b32 s0, sendmsg(MSG_RTN_GET_DOORBELL)
	s_mov_b32 ttmp2, m0
	s_waitcnt lgkmcnt(0)
	s_and_b32 s0, s0, 0x3ff
	s_delay_alu instid0(SALU_CYCLE_1) | instskip(NEXT) | instid1(SALU_CYCLE_1)
	s_bitset1_b32 s0, 10
	s_mov_b32 m0, s0
	s_sendmsg sendmsg(MSG_INTERRUPT)
	s_mov_b32 m0, ttmp2
.LBB4_750:                              ; =>This Inner Loop Header: Depth=1
	s_sethalt 5
	s_branch .LBB4_750
.LBB4_751:
	s_trap 2
	s_sendmsg_rtn_b32 s0, sendmsg(MSG_RTN_GET_DOORBELL)
	s_mov_b32 ttmp2, m0
	s_waitcnt lgkmcnt(0)
	s_and_b32 s0, s0, 0x3ff
	s_delay_alu instid0(SALU_CYCLE_1) | instskip(NEXT) | instid1(SALU_CYCLE_1)
	s_bitset1_b32 s0, 10
	s_mov_b32 m0, s0
	s_sendmsg sendmsg(MSG_INTERRUPT)
	s_mov_b32 m0, ttmp2
.LBB4_752:                              ; =>This Inner Loop Header: Depth=1
	s_sethalt 5
	s_branch .LBB4_752
.LBB4_753:                              ;   in Loop: Header=BB4_754 Depth=1
	s_or_b32 exec_lo, exec_lo, s12
	s_delay_alu instid0(SALU_CYCLE_1) | instskip(NEXT) | instid1(SALU_CYCLE_1)
	s_and_b32 s10, exec_lo, s11
	s_or_b32 s4, s10, s4
	s_and_not1_b32 s5, s5, exec_lo
	s_and_b32 s10, s6, exec_lo
	s_delay_alu instid0(SALU_CYCLE_1)
	s_or_b32 s5, s5, s10
	s_and_not1_b32 exec_lo, exec_lo, s4
	s_cbranch_execz .LBB4_872
.LBB4_754:                              ; =>This Inner Loop Header: Depth=1
	s_add_i32 s7, s7, 1
                                        ; implicit-def: $sgpr11
	s_delay_alu instid0(SALU_CYCLE_1) | instskip(SKIP_1) | instid1(SALU_CYCLE_1)
	s_cmpk_lg_i32 s7, 0x2710
	s_cselect_b32 s10, -1, 0
	s_and_b32 vcc_lo, exec_lo, s10
	s_cbranch_vccz .LBB4_758
.LBB4_755:                              ;   in Loop: Header=BB4_754 Depth=1
	s_and_not1_b32 s6, s6, exec_lo
	s_and_b32 s12, s11, exec_lo
	s_mov_b32 s11, -1
	s_or_b32 s6, s6, s12
	s_and_saveexec_b32 s12, s10
	s_cbranch_execz .LBB4_753
; %bb.756:                              ;   in Loop: Header=BB4_754 Depth=1
	s_sleep 1
	s_cbranch_execnz .LBB4_780
; %bb.757:                              ;   in Loop: Header=BB4_754 Depth=1
	ds_load_b64 v[2:3], v0
	s_and_not1_b32 s6, s6, exec_lo
	s_waitcnt lgkmcnt(0)
	v_cmp_ge_u64_e32 vcc_lo, v[2:3], v[0:1]
	s_or_not1_b32 s11, vcc_lo, exec_lo
	s_branch .LBB4_753
.LBB4_758:                              ;   in Loop: Header=BB4_754 Depth=1
	s_cbranch_execnz .LBB4_788
; %bb.759:                              ;   in Loop: Header=BB4_754 Depth=1
	ds_load_b64 v[2:3], v0
	s_and_not1_b32 s10, s10, exec_lo
	s_mov_b32 s7, 0
	s_mov_b32 s11, -1
	s_waitcnt lgkmcnt(0)
	flat_load_b32 v2, v[2:3] glc
	s_waitcnt vmcnt(0) lgkmcnt(0)
	buffer_gl1_inv
	buffer_gl0_inv
	v_cmp_eq_u32_e32 vcc_lo, 0, v2
	s_and_b32 s12, vcc_lo, exec_lo
	s_delay_alu instid0(SALU_CYCLE_1)
	s_or_b32 s10, s10, s12
	s_branch .LBB4_755
.LBB4_760:
	s_trap 2
	s_sendmsg_rtn_b32 s0, sendmsg(MSG_RTN_GET_DOORBELL)
	s_mov_b32 ttmp2, m0
	s_waitcnt lgkmcnt(0)
	s_and_b32 s0, s0, 0x3ff
	s_delay_alu instid0(SALU_CYCLE_1) | instskip(NEXT) | instid1(SALU_CYCLE_1)
	s_bitset1_b32 s0, 10
	s_mov_b32 m0, s0
	s_sendmsg sendmsg(MSG_INTERRUPT)
	s_mov_b32 m0, ttmp2
.LBB4_761:                              ; =>This Inner Loop Header: Depth=1
	s_sethalt 5
	s_branch .LBB4_761
.LBB4_762:
	s_trap 2
	s_sendmsg_rtn_b32 s0, sendmsg(MSG_RTN_GET_DOORBELL)
	s_mov_b32 ttmp2, m0
	s_waitcnt lgkmcnt(0)
	s_and_b32 s0, s0, 0x3ff
	s_delay_alu instid0(SALU_CYCLE_1) | instskip(NEXT) | instid1(SALU_CYCLE_1)
	s_bitset1_b32 s0, 10
	s_mov_b32 m0, s0
	s_sendmsg sendmsg(MSG_INTERRUPT)
	s_mov_b32 m0, ttmp2
.LBB4_763:                              ; =>This Inner Loop Header: Depth=1
	s_sethalt 5
	s_branch .LBB4_763
.LBB4_764:
	s_trap 2
	s_sendmsg_rtn_b32 s0, sendmsg(MSG_RTN_GET_DOORBELL)
	s_mov_b32 ttmp2, m0
	s_waitcnt lgkmcnt(0)
	s_and_b32 s0, s0, 0x3ff
	s_delay_alu instid0(SALU_CYCLE_1) | instskip(NEXT) | instid1(SALU_CYCLE_1)
	s_bitset1_b32 s0, 10
	s_mov_b32 m0, s0
	s_sendmsg sendmsg(MSG_INTERRUPT)
	s_mov_b32 m0, ttmp2
.LBB4_765:                              ; =>This Inner Loop Header: Depth=1
	s_sethalt 5
	s_branch .LBB4_765
.LBB4_766:
	s_trap 2
	s_sendmsg_rtn_b32 s0, sendmsg(MSG_RTN_GET_DOORBELL)
	s_mov_b32 ttmp2, m0
	s_waitcnt lgkmcnt(0)
	s_and_b32 s0, s0, 0x3ff
	s_delay_alu instid0(SALU_CYCLE_1) | instskip(NEXT) | instid1(SALU_CYCLE_1)
	s_bitset1_b32 s0, 10
	s_mov_b32 m0, s0
	s_sendmsg sendmsg(MSG_INTERRUPT)
	s_mov_b32 m0, ttmp2
.LBB4_767:                              ; =>This Inner Loop Header: Depth=1
	s_sethalt 5
	s_branch .LBB4_767
.LBB4_768:
	s_trap 2
	s_sendmsg_rtn_b32 s0, sendmsg(MSG_RTN_GET_DOORBELL)
	s_mov_b32 ttmp2, m0
	s_waitcnt lgkmcnt(0)
	s_and_b32 s0, s0, 0x3ff
	s_delay_alu instid0(SALU_CYCLE_1) | instskip(NEXT) | instid1(SALU_CYCLE_1)
	s_bitset1_b32 s0, 10
	s_mov_b32 m0, s0
	s_sendmsg sendmsg(MSG_INTERRUPT)
	s_mov_b32 m0, ttmp2
.LBB4_769:                              ; =>This Inner Loop Header: Depth=1
	s_sethalt 5
	s_branch .LBB4_769
.LBB4_770:
	s_trap 2
	s_sendmsg_rtn_b32 s0, sendmsg(MSG_RTN_GET_DOORBELL)
	s_mov_b32 ttmp2, m0
	s_waitcnt lgkmcnt(0)
	s_and_b32 s0, s0, 0x3ff
	s_delay_alu instid0(SALU_CYCLE_1) | instskip(NEXT) | instid1(SALU_CYCLE_1)
	s_bitset1_b32 s0, 10
	s_mov_b32 m0, s0
	s_sendmsg sendmsg(MSG_INTERRUPT)
	s_mov_b32 m0, ttmp2
.LBB4_771:                              ; =>This Inner Loop Header: Depth=1
	s_sethalt 5
	s_branch .LBB4_771
.LBB4_772:
	s_trap 2
	s_sendmsg_rtn_b32 s0, sendmsg(MSG_RTN_GET_DOORBELL)
	s_mov_b32 ttmp2, m0
	s_waitcnt lgkmcnt(0)
	s_and_b32 s0, s0, 0x3ff
	s_delay_alu instid0(SALU_CYCLE_1) | instskip(NEXT) | instid1(SALU_CYCLE_1)
	s_bitset1_b32 s0, 10
	s_mov_b32 m0, s0
	s_sendmsg sendmsg(MSG_INTERRUPT)
	s_mov_b32 m0, ttmp2
.LBB4_773:                              ; =>This Inner Loop Header: Depth=1
	s_sethalt 5
	s_branch .LBB4_773
.LBB4_774:
	s_trap 2
	s_sendmsg_rtn_b32 s0, sendmsg(MSG_RTN_GET_DOORBELL)
	s_mov_b32 ttmp2, m0
	s_waitcnt lgkmcnt(0)
	s_and_b32 s0, s0, 0x3ff
	s_delay_alu instid0(SALU_CYCLE_1) | instskip(NEXT) | instid1(SALU_CYCLE_1)
	s_bitset1_b32 s0, 10
	s_mov_b32 m0, s0
	s_sendmsg sendmsg(MSG_INTERRUPT)
	s_mov_b32 m0, ttmp2
.LBB4_775:                              ; =>This Inner Loop Header: Depth=1
	s_sethalt 5
	s_branch .LBB4_775
.LBB4_776:
	s_trap 2
	s_sendmsg_rtn_b32 s0, sendmsg(MSG_RTN_GET_DOORBELL)
	s_mov_b32 ttmp2, m0
	s_waitcnt lgkmcnt(0)
	s_and_b32 s0, s0, 0x3ff
	s_delay_alu instid0(SALU_CYCLE_1) | instskip(NEXT) | instid1(SALU_CYCLE_1)
	s_bitset1_b32 s0, 10
	s_mov_b32 m0, s0
	s_sendmsg sendmsg(MSG_INTERRUPT)
	s_mov_b32 m0, ttmp2
.LBB4_777:                              ; =>This Inner Loop Header: Depth=1
	s_sethalt 5
	s_branch .LBB4_777
.LBB4_778:
	s_trap 2
	s_sendmsg_rtn_b32 s0, sendmsg(MSG_RTN_GET_DOORBELL)
	s_mov_b32 ttmp2, m0
	s_waitcnt lgkmcnt(0)
	s_and_b32 s0, s0, 0x3ff
	s_delay_alu instid0(SALU_CYCLE_1) | instskip(NEXT) | instid1(SALU_CYCLE_1)
	s_bitset1_b32 s0, 10
	s_mov_b32 m0, s0
	s_sendmsg sendmsg(MSG_INTERRUPT)
	s_mov_b32 m0, ttmp2
.LBB4_779:                              ; =>This Inner Loop Header: Depth=1
	s_sethalt 5
	s_branch .LBB4_779
.LBB4_780:
	s_trap 2
	s_sendmsg_rtn_b32 s0, sendmsg(MSG_RTN_GET_DOORBELL)
	s_mov_b32 ttmp2, m0
	s_waitcnt lgkmcnt(0)
	s_and_b32 s0, s0, 0x3ff
	s_delay_alu instid0(SALU_CYCLE_1) | instskip(NEXT) | instid1(SALU_CYCLE_1)
	s_bitset1_b32 s0, 10
	s_mov_b32 m0, s0
	s_sendmsg sendmsg(MSG_INTERRUPT)
	s_mov_b32 m0, ttmp2
.LBB4_781:                              ; =>This Inner Loop Header: Depth=1
	s_sethalt 5
	s_branch .LBB4_781
.LBB4_782:
	s_trap 2
	s_sendmsg_rtn_b32 s0, sendmsg(MSG_RTN_GET_DOORBELL)
	s_mov_b32 ttmp2, m0
	s_waitcnt lgkmcnt(0)
	s_and_b32 s0, s0, 0x3ff
	s_delay_alu instid0(SALU_CYCLE_1) | instskip(NEXT) | instid1(SALU_CYCLE_1)
	s_bitset1_b32 s0, 10
	s_mov_b32 m0, s0
	s_sendmsg sendmsg(MSG_INTERRUPT)
	s_mov_b32 m0, ttmp2
.LBB4_783:                              ; =>This Inner Loop Header: Depth=1
	s_sethalt 5
	s_branch .LBB4_783
.LBB4_784:
	s_trap 2
	s_sendmsg_rtn_b32 s0, sendmsg(MSG_RTN_GET_DOORBELL)
	s_mov_b32 ttmp2, m0
	s_waitcnt lgkmcnt(0)
	s_and_b32 s0, s0, 0x3ff
	s_delay_alu instid0(SALU_CYCLE_1) | instskip(NEXT) | instid1(SALU_CYCLE_1)
	s_bitset1_b32 s0, 10
	s_mov_b32 m0, s0
	s_sendmsg sendmsg(MSG_INTERRUPT)
	s_mov_b32 m0, ttmp2
.LBB4_785:                              ; =>This Inner Loop Header: Depth=1
	s_sethalt 5
	s_branch .LBB4_785
.LBB4_786:
	s_trap 2
	s_sendmsg_rtn_b32 s0, sendmsg(MSG_RTN_GET_DOORBELL)
	s_mov_b32 ttmp2, m0
	s_waitcnt lgkmcnt(0)
	s_and_b32 s0, s0, 0x3ff
	s_delay_alu instid0(SALU_CYCLE_1) | instskip(NEXT) | instid1(SALU_CYCLE_1)
	s_bitset1_b32 s0, 10
	s_mov_b32 m0, s0
	s_sendmsg sendmsg(MSG_INTERRUPT)
	s_mov_b32 m0, ttmp2
.LBB4_787:                              ; =>This Inner Loop Header: Depth=1
	s_sethalt 5
	s_branch .LBB4_787
.LBB4_788:
	s_trap 2
	s_sendmsg_rtn_b32 s0, sendmsg(MSG_RTN_GET_DOORBELL)
	s_mov_b32 ttmp2, m0
	s_waitcnt lgkmcnt(0)
	s_and_b32 s0, s0, 0x3ff
	s_delay_alu instid0(SALU_CYCLE_1) | instskip(NEXT) | instid1(SALU_CYCLE_1)
	s_bitset1_b32 s0, 10
	s_mov_b32 m0, s0
	s_sendmsg sendmsg(MSG_INTERRUPT)
	s_mov_b32 m0, ttmp2
.LBB4_789:                              ; =>This Inner Loop Header: Depth=1
	s_sethalt 5
	s_branch .LBB4_789
.LBB4_790:
	s_trap 2
	s_sendmsg_rtn_b32 s0, sendmsg(MSG_RTN_GET_DOORBELL)
	s_mov_b32 ttmp2, m0
	s_waitcnt lgkmcnt(0)
	s_and_b32 s0, s0, 0x3ff
	s_delay_alu instid0(SALU_CYCLE_1) | instskip(NEXT) | instid1(SALU_CYCLE_1)
	s_bitset1_b32 s0, 10
	s_mov_b32 m0, s0
	s_sendmsg sendmsg(MSG_INTERRUPT)
	s_mov_b32 m0, ttmp2
.LBB4_791:                              ; =>This Inner Loop Header: Depth=1
	s_sethalt 5
	s_branch .LBB4_791
.LBB4_792:
	s_trap 2
	s_sendmsg_rtn_b32 s0, sendmsg(MSG_RTN_GET_DOORBELL)
	s_mov_b32 ttmp2, m0
	s_waitcnt lgkmcnt(0)
	s_and_b32 s0, s0, 0x3ff
	s_delay_alu instid0(SALU_CYCLE_1) | instskip(NEXT) | instid1(SALU_CYCLE_1)
	s_bitset1_b32 s0, 10
	s_mov_b32 m0, s0
	s_sendmsg sendmsg(MSG_INTERRUPT)
	s_mov_b32 m0, ttmp2
.LBB4_793:                              ; =>This Inner Loop Header: Depth=1
	s_sethalt 5
	s_branch .LBB4_793
.LBB4_794:
	s_trap 2
	s_sendmsg_rtn_b32 s0, sendmsg(MSG_RTN_GET_DOORBELL)
	s_mov_b32 ttmp2, m0
	s_waitcnt lgkmcnt(0)
	s_and_b32 s0, s0, 0x3ff
	s_delay_alu instid0(SALU_CYCLE_1) | instskip(NEXT) | instid1(SALU_CYCLE_1)
	s_bitset1_b32 s0, 10
	s_mov_b32 m0, s0
	s_sendmsg sendmsg(MSG_INTERRUPT)
	s_mov_b32 m0, ttmp2
.LBB4_795:                              ; =>This Inner Loop Header: Depth=1
	s_sethalt 5
	s_branch .LBB4_795
.LBB4_796:
	s_trap 2
	s_sendmsg_rtn_b32 s0, sendmsg(MSG_RTN_GET_DOORBELL)
	s_mov_b32 ttmp2, m0
	s_waitcnt lgkmcnt(0)
	s_and_b32 s0, s0, 0x3ff
	s_delay_alu instid0(SALU_CYCLE_1) | instskip(NEXT) | instid1(SALU_CYCLE_1)
	s_bitset1_b32 s0, 10
	s_mov_b32 m0, s0
	s_sendmsg sendmsg(MSG_INTERRUPT)
	s_mov_b32 m0, ttmp2
.LBB4_797:                              ; =>This Inner Loop Header: Depth=1
	s_sethalt 5
	s_branch .LBB4_797
.LBB4_798:
	s_trap 2
	s_sendmsg_rtn_b32 s0, sendmsg(MSG_RTN_GET_DOORBELL)
	s_mov_b32 ttmp2, m0
	s_waitcnt lgkmcnt(0)
	s_and_b32 s0, s0, 0x3ff
	s_delay_alu instid0(SALU_CYCLE_1) | instskip(NEXT) | instid1(SALU_CYCLE_1)
	s_bitset1_b32 s0, 10
	s_mov_b32 m0, s0
	s_sendmsg sendmsg(MSG_INTERRUPT)
	s_mov_b32 m0, ttmp2
.LBB4_799:                              ; =>This Inner Loop Header: Depth=1
	s_sethalt 5
	s_branch .LBB4_799
.LBB4_800:
	s_trap 2
	s_sendmsg_rtn_b32 s0, sendmsg(MSG_RTN_GET_DOORBELL)
	s_mov_b32 ttmp2, m0
	s_waitcnt lgkmcnt(0)
	s_and_b32 s0, s0, 0x3ff
	s_delay_alu instid0(SALU_CYCLE_1) | instskip(NEXT) | instid1(SALU_CYCLE_1)
	s_bitset1_b32 s0, 10
	s_mov_b32 m0, s0
	s_sendmsg sendmsg(MSG_INTERRUPT)
	s_mov_b32 m0, ttmp2
.LBB4_801:                              ; =>This Inner Loop Header: Depth=1
	s_sethalt 5
	s_branch .LBB4_801
.LBB4_802:
	s_trap 2
	s_sendmsg_rtn_b32 s0, sendmsg(MSG_RTN_GET_DOORBELL)
	s_mov_b32 ttmp2, m0
	s_waitcnt lgkmcnt(0)
	s_and_b32 s0, s0, 0x3ff
	s_delay_alu instid0(SALU_CYCLE_1) | instskip(NEXT) | instid1(SALU_CYCLE_1)
	s_bitset1_b32 s0, 10
	s_mov_b32 m0, s0
	s_sendmsg sendmsg(MSG_INTERRUPT)
	s_mov_b32 m0, ttmp2
.LBB4_803:                              ; =>This Inner Loop Header: Depth=1
	s_sethalt 5
	s_branch .LBB4_803
.LBB4_804:
	s_trap 2
	s_sendmsg_rtn_b32 s0, sendmsg(MSG_RTN_GET_DOORBELL)
	s_mov_b32 ttmp2, m0
	s_waitcnt lgkmcnt(0)
	s_and_b32 s0, s0, 0x3ff
	s_delay_alu instid0(SALU_CYCLE_1) | instskip(NEXT) | instid1(SALU_CYCLE_1)
	s_bitset1_b32 s0, 10
	s_mov_b32 m0, s0
	s_sendmsg sendmsg(MSG_INTERRUPT)
	s_mov_b32 m0, ttmp2
.LBB4_805:                              ; =>This Inner Loop Header: Depth=1
	s_sethalt 5
	s_branch .LBB4_805
.LBB4_806:
	s_trap 2
	s_sendmsg_rtn_b32 s0, sendmsg(MSG_RTN_GET_DOORBELL)
	s_mov_b32 ttmp2, m0
	s_waitcnt lgkmcnt(0)
	s_and_b32 s0, s0, 0x3ff
	s_delay_alu instid0(SALU_CYCLE_1) | instskip(NEXT) | instid1(SALU_CYCLE_1)
	s_bitset1_b32 s0, 10
	s_mov_b32 m0, s0
	s_sendmsg sendmsg(MSG_INTERRUPT)
	s_mov_b32 m0, ttmp2
.LBB4_807:                              ; =>This Inner Loop Header: Depth=1
	s_sethalt 5
	s_branch .LBB4_807
.LBB4_808:
	s_trap 2
	s_sendmsg_rtn_b32 s0, sendmsg(MSG_RTN_GET_DOORBELL)
	s_mov_b32 ttmp2, m0
	s_waitcnt lgkmcnt(0)
	s_and_b32 s0, s0, 0x3ff
	s_delay_alu instid0(SALU_CYCLE_1) | instskip(NEXT) | instid1(SALU_CYCLE_1)
	s_bitset1_b32 s0, 10
	s_mov_b32 m0, s0
	s_sendmsg sendmsg(MSG_INTERRUPT)
	s_mov_b32 m0, ttmp2
.LBB4_809:                              ; =>This Inner Loop Header: Depth=1
	s_sethalt 5
	s_branch .LBB4_809
.LBB4_810:
	s_trap 2
	s_sendmsg_rtn_b32 s0, sendmsg(MSG_RTN_GET_DOORBELL)
	s_mov_b32 ttmp2, m0
	s_waitcnt lgkmcnt(0)
	s_and_b32 s0, s0, 0x3ff
	s_delay_alu instid0(SALU_CYCLE_1) | instskip(NEXT) | instid1(SALU_CYCLE_1)
	s_bitset1_b32 s0, 10
	s_mov_b32 m0, s0
	s_sendmsg sendmsg(MSG_INTERRUPT)
	s_mov_b32 m0, ttmp2
.LBB4_811:                              ; =>This Inner Loop Header: Depth=1
	s_sethalt 5
	s_branch .LBB4_811
.LBB4_812:
	s_trap 2
	s_sendmsg_rtn_b32 s0, sendmsg(MSG_RTN_GET_DOORBELL)
	s_mov_b32 ttmp2, m0
	s_waitcnt lgkmcnt(0)
	s_and_b32 s0, s0, 0x3ff
	s_delay_alu instid0(SALU_CYCLE_1) | instskip(NEXT) | instid1(SALU_CYCLE_1)
	s_bitset1_b32 s0, 10
	s_mov_b32 m0, s0
	s_sendmsg sendmsg(MSG_INTERRUPT)
	s_mov_b32 m0, ttmp2
.LBB4_813:                              ; =>This Inner Loop Header: Depth=1
	s_sethalt 5
	s_branch .LBB4_813
.LBB4_814:
	s_trap 2
	s_sendmsg_rtn_b32 s0, sendmsg(MSG_RTN_GET_DOORBELL)
	s_mov_b32 ttmp2, m0
	s_waitcnt lgkmcnt(0)
	s_and_b32 s0, s0, 0x3ff
	s_delay_alu instid0(SALU_CYCLE_1) | instskip(NEXT) | instid1(SALU_CYCLE_1)
	s_bitset1_b32 s0, 10
	s_mov_b32 m0, s0
	s_sendmsg sendmsg(MSG_INTERRUPT)
	s_mov_b32 m0, ttmp2
.LBB4_815:                              ; =>This Inner Loop Header: Depth=1
	s_sethalt 5
	s_branch .LBB4_815
.LBB4_816:
	s_trap 2
	s_sendmsg_rtn_b32 s0, sendmsg(MSG_RTN_GET_DOORBELL)
	s_mov_b32 ttmp2, m0
	s_waitcnt lgkmcnt(0)
	s_and_b32 s0, s0, 0x3ff
	s_delay_alu instid0(SALU_CYCLE_1) | instskip(NEXT) | instid1(SALU_CYCLE_1)
	s_bitset1_b32 s0, 10
	s_mov_b32 m0, s0
	s_sendmsg sendmsg(MSG_INTERRUPT)
	s_mov_b32 m0, ttmp2
.LBB4_817:                              ; =>This Inner Loop Header: Depth=1
	s_sethalt 5
	s_branch .LBB4_817
.LBB4_818:
	s_trap 2
	s_sendmsg_rtn_b32 s0, sendmsg(MSG_RTN_GET_DOORBELL)
	s_mov_b32 ttmp2, m0
	s_waitcnt lgkmcnt(0)
	s_and_b32 s0, s0, 0x3ff
	s_delay_alu instid0(SALU_CYCLE_1) | instskip(NEXT) | instid1(SALU_CYCLE_1)
	s_bitset1_b32 s0, 10
	s_mov_b32 m0, s0
	s_sendmsg sendmsg(MSG_INTERRUPT)
	s_mov_b32 m0, ttmp2
.LBB4_819:                              ; =>This Inner Loop Header: Depth=1
	s_sethalt 5
	s_branch .LBB4_819
.LBB4_820:
	s_trap 2
	s_sendmsg_rtn_b32 s0, sendmsg(MSG_RTN_GET_DOORBELL)
	s_mov_b32 ttmp2, m0
	s_waitcnt lgkmcnt(0)
	s_and_b32 s0, s0, 0x3ff
	s_delay_alu instid0(SALU_CYCLE_1) | instskip(NEXT) | instid1(SALU_CYCLE_1)
	s_bitset1_b32 s0, 10
	s_mov_b32 m0, s0
	s_sendmsg sendmsg(MSG_INTERRUPT)
	s_mov_b32 m0, ttmp2
.LBB4_821:                              ; =>This Inner Loop Header: Depth=1
	s_sethalt 5
	s_branch .LBB4_821
.LBB4_822:
	s_trap 2
	s_sendmsg_rtn_b32 s0, sendmsg(MSG_RTN_GET_DOORBELL)
	s_mov_b32 ttmp2, m0
	s_waitcnt lgkmcnt(0)
	s_and_b32 s0, s0, 0x3ff
	s_delay_alu instid0(SALU_CYCLE_1) | instskip(NEXT) | instid1(SALU_CYCLE_1)
	s_bitset1_b32 s0, 10
	s_mov_b32 m0, s0
	s_sendmsg sendmsg(MSG_INTERRUPT)
	s_mov_b32 m0, ttmp2
.LBB4_823:                              ; =>This Inner Loop Header: Depth=1
	s_sethalt 5
	s_branch .LBB4_823
.LBB4_824:
	s_trap 2
	s_sendmsg_rtn_b32 s0, sendmsg(MSG_RTN_GET_DOORBELL)
	s_mov_b32 ttmp2, m0
	s_waitcnt lgkmcnt(0)
	s_and_b32 s0, s0, 0x3ff
	s_delay_alu instid0(SALU_CYCLE_1) | instskip(NEXT) | instid1(SALU_CYCLE_1)
	s_bitset1_b32 s0, 10
	s_mov_b32 m0, s0
	s_sendmsg sendmsg(MSG_INTERRUPT)
	s_mov_b32 m0, ttmp2
.LBB4_825:                              ; =>This Inner Loop Header: Depth=1
	s_sethalt 5
	s_branch .LBB4_825
.LBB4_826:
	s_trap 2
	s_sendmsg_rtn_b32 s0, sendmsg(MSG_RTN_GET_DOORBELL)
	s_mov_b32 ttmp2, m0
	s_waitcnt lgkmcnt(0)
	s_and_b32 s0, s0, 0x3ff
	s_delay_alu instid0(SALU_CYCLE_1) | instskip(NEXT) | instid1(SALU_CYCLE_1)
	s_bitset1_b32 s0, 10
	s_mov_b32 m0, s0
	s_sendmsg sendmsg(MSG_INTERRUPT)
	s_mov_b32 m0, ttmp2
.LBB4_827:                              ; =>This Inner Loop Header: Depth=1
	s_sethalt 5
	s_branch .LBB4_827
.LBB4_828:
	s_trap 2
	s_sendmsg_rtn_b32 s0, sendmsg(MSG_RTN_GET_DOORBELL)
	s_mov_b32 ttmp2, m0
	s_waitcnt lgkmcnt(0)
	s_and_b32 s0, s0, 0x3ff
	s_delay_alu instid0(SALU_CYCLE_1) | instskip(NEXT) | instid1(SALU_CYCLE_1)
	s_bitset1_b32 s0, 10
	s_mov_b32 m0, s0
	s_sendmsg sendmsg(MSG_INTERRUPT)
	s_mov_b32 m0, ttmp2
.LBB4_829:                              ; =>This Inner Loop Header: Depth=1
	s_sethalt 5
	s_branch .LBB4_829
.LBB4_830:
	s_trap 2
	s_sendmsg_rtn_b32 s0, sendmsg(MSG_RTN_GET_DOORBELL)
	s_mov_b32 ttmp2, m0
	s_waitcnt lgkmcnt(0)
	s_and_b32 s0, s0, 0x3ff
	s_delay_alu instid0(SALU_CYCLE_1) | instskip(NEXT) | instid1(SALU_CYCLE_1)
	s_bitset1_b32 s0, 10
	s_mov_b32 m0, s0
	s_sendmsg sendmsg(MSG_INTERRUPT)
	s_mov_b32 m0, ttmp2
.LBB4_831:                              ; =>This Inner Loop Header: Depth=1
	s_sethalt 5
	s_branch .LBB4_831
.LBB4_832:
	s_trap 2
	s_sendmsg_rtn_b32 s0, sendmsg(MSG_RTN_GET_DOORBELL)
	s_mov_b32 ttmp2, m0
	s_waitcnt lgkmcnt(0)
	s_and_b32 s0, s0, 0x3ff
	s_delay_alu instid0(SALU_CYCLE_1) | instskip(NEXT) | instid1(SALU_CYCLE_1)
	s_bitset1_b32 s0, 10
	s_mov_b32 m0, s0
	s_sendmsg sendmsg(MSG_INTERRUPT)
	s_mov_b32 m0, ttmp2
.LBB4_833:                              ; =>This Inner Loop Header: Depth=1
	s_sethalt 5
	s_branch .LBB4_833
.LBB4_834:
	s_trap 2
	s_sendmsg_rtn_b32 s0, sendmsg(MSG_RTN_GET_DOORBELL)
	s_mov_b32 ttmp2, m0
	s_waitcnt lgkmcnt(0)
	s_and_b32 s0, s0, 0x3ff
	s_delay_alu instid0(SALU_CYCLE_1) | instskip(NEXT) | instid1(SALU_CYCLE_1)
	s_bitset1_b32 s0, 10
	s_mov_b32 m0, s0
	s_sendmsg sendmsg(MSG_INTERRUPT)
	s_mov_b32 m0, ttmp2
.LBB4_835:                              ; =>This Inner Loop Header: Depth=1
	s_sethalt 5
	s_branch .LBB4_835
.LBB4_836:
	s_trap 2
	s_sendmsg_rtn_b32 s0, sendmsg(MSG_RTN_GET_DOORBELL)
	s_mov_b32 ttmp2, m0
	s_waitcnt lgkmcnt(0)
	s_and_b32 s0, s0, 0x3ff
	s_delay_alu instid0(SALU_CYCLE_1) | instskip(NEXT) | instid1(SALU_CYCLE_1)
	s_bitset1_b32 s0, 10
	s_mov_b32 m0, s0
	s_sendmsg sendmsg(MSG_INTERRUPT)
	s_mov_b32 m0, ttmp2
.LBB4_837:                              ; =>This Inner Loop Header: Depth=1
	s_sethalt 5
	s_branch .LBB4_837
.LBB4_838:
	s_trap 2
	s_sendmsg_rtn_b32 s0, sendmsg(MSG_RTN_GET_DOORBELL)
	s_mov_b32 ttmp2, m0
	s_waitcnt lgkmcnt(0)
	s_and_b32 s0, s0, 0x3ff
	s_delay_alu instid0(SALU_CYCLE_1) | instskip(NEXT) | instid1(SALU_CYCLE_1)
	s_bitset1_b32 s0, 10
	s_mov_b32 m0, s0
	s_sendmsg sendmsg(MSG_INTERRUPT)
	s_mov_b32 m0, ttmp2
.LBB4_839:                              ; =>This Inner Loop Header: Depth=1
	s_sethalt 5
	s_branch .LBB4_839
.LBB4_840:
	s_trap 2
	s_sendmsg_rtn_b32 s0, sendmsg(MSG_RTN_GET_DOORBELL)
	s_mov_b32 ttmp2, m0
	s_waitcnt lgkmcnt(0)
	s_and_b32 s0, s0, 0x3ff
	s_delay_alu instid0(SALU_CYCLE_1) | instskip(NEXT) | instid1(SALU_CYCLE_1)
	s_bitset1_b32 s0, 10
	s_mov_b32 m0, s0
	s_sendmsg sendmsg(MSG_INTERRUPT)
	s_mov_b32 m0, ttmp2
.LBB4_841:                              ; =>This Inner Loop Header: Depth=1
	s_sethalt 5
	s_branch .LBB4_841
.LBB4_842:
	s_trap 2
	s_sendmsg_rtn_b32 s0, sendmsg(MSG_RTN_GET_DOORBELL)
	s_mov_b32 ttmp2, m0
	s_waitcnt lgkmcnt(0)
	s_and_b32 s0, s0, 0x3ff
	s_delay_alu instid0(SALU_CYCLE_1) | instskip(NEXT) | instid1(SALU_CYCLE_1)
	s_bitset1_b32 s0, 10
	s_mov_b32 m0, s0
	s_sendmsg sendmsg(MSG_INTERRUPT)
	s_mov_b32 m0, ttmp2
.LBB4_843:                              ; =>This Inner Loop Header: Depth=1
	s_sethalt 5
	s_branch .LBB4_843
.LBB4_844:
	s_trap 2
	s_sendmsg_rtn_b32 s0, sendmsg(MSG_RTN_GET_DOORBELL)
	s_mov_b32 ttmp2, m0
	s_waitcnt lgkmcnt(0)
	s_and_b32 s0, s0, 0x3ff
	s_delay_alu instid0(SALU_CYCLE_1) | instskip(NEXT) | instid1(SALU_CYCLE_1)
	s_bitset1_b32 s0, 10
	s_mov_b32 m0, s0
	s_sendmsg sendmsg(MSG_INTERRUPT)
	s_mov_b32 m0, ttmp2
.LBB4_845:                              ; =>This Inner Loop Header: Depth=1
	s_sethalt 5
	s_branch .LBB4_845
.LBB4_846:
	s_trap 2
	s_sendmsg_rtn_b32 s0, sendmsg(MSG_RTN_GET_DOORBELL)
	s_mov_b32 ttmp2, m0
	s_waitcnt lgkmcnt(0)
	s_and_b32 s0, s0, 0x3ff
	s_delay_alu instid0(SALU_CYCLE_1) | instskip(NEXT) | instid1(SALU_CYCLE_1)
	s_bitset1_b32 s0, 10
	s_mov_b32 m0, s0
	s_sendmsg sendmsg(MSG_INTERRUPT)
	s_mov_b32 m0, ttmp2
.LBB4_847:                              ; =>This Inner Loop Header: Depth=1
	s_sethalt 5
	s_branch .LBB4_847
.LBB4_848:
	s_trap 2
	s_sendmsg_rtn_b32 s0, sendmsg(MSG_RTN_GET_DOORBELL)
	s_mov_b32 ttmp2, m0
	s_waitcnt lgkmcnt(0)
	s_and_b32 s0, s0, 0x3ff
	s_delay_alu instid0(SALU_CYCLE_1) | instskip(NEXT) | instid1(SALU_CYCLE_1)
	s_bitset1_b32 s0, 10
	s_mov_b32 m0, s0
	s_sendmsg sendmsg(MSG_INTERRUPT)
	s_mov_b32 m0, ttmp2
.LBB4_849:                              ; =>This Inner Loop Header: Depth=1
	s_sethalt 5
	s_branch .LBB4_849
.LBB4_850:
	s_trap 2
	s_sendmsg_rtn_b32 s0, sendmsg(MSG_RTN_GET_DOORBELL)
	s_mov_b32 ttmp2, m0
	s_waitcnt lgkmcnt(0)
	s_and_b32 s0, s0, 0x3ff
	s_delay_alu instid0(SALU_CYCLE_1) | instskip(NEXT) | instid1(SALU_CYCLE_1)
	s_bitset1_b32 s0, 10
	s_mov_b32 m0, s0
	s_sendmsg sendmsg(MSG_INTERRUPT)
	s_mov_b32 m0, ttmp2
.LBB4_851:                              ; =>This Inner Loop Header: Depth=1
	s_sethalt 5
	s_branch .LBB4_851
.LBB4_852:
	s_trap 2
	s_sendmsg_rtn_b32 s0, sendmsg(MSG_RTN_GET_DOORBELL)
	s_mov_b32 ttmp2, m0
	s_waitcnt lgkmcnt(0)
	s_and_b32 s0, s0, 0x3ff
	s_delay_alu instid0(SALU_CYCLE_1) | instskip(NEXT) | instid1(SALU_CYCLE_1)
	s_bitset1_b32 s0, 10
	s_mov_b32 m0, s0
	s_sendmsg sendmsg(MSG_INTERRUPT)
	s_mov_b32 m0, ttmp2
.LBB4_853:                              ; =>This Inner Loop Header: Depth=1
	s_sethalt 5
	s_branch .LBB4_853
.LBB4_854:
	s_trap 2
	s_sendmsg_rtn_b32 s0, sendmsg(MSG_RTN_GET_DOORBELL)
	s_mov_b32 ttmp2, m0
	s_waitcnt lgkmcnt(0)
	s_and_b32 s0, s0, 0x3ff
	s_delay_alu instid0(SALU_CYCLE_1) | instskip(NEXT) | instid1(SALU_CYCLE_1)
	s_bitset1_b32 s0, 10
	s_mov_b32 m0, s0
	s_sendmsg sendmsg(MSG_INTERRUPT)
	s_mov_b32 m0, ttmp2
.LBB4_855:                              ; =>This Inner Loop Header: Depth=1
	s_sethalt 5
	s_branch .LBB4_855
.LBB4_856:
	s_trap 2
	s_sendmsg_rtn_b32 s0, sendmsg(MSG_RTN_GET_DOORBELL)
	s_mov_b32 ttmp2, m0
	s_waitcnt lgkmcnt(0)
	s_and_b32 s0, s0, 0x3ff
	s_delay_alu instid0(SALU_CYCLE_1) | instskip(NEXT) | instid1(SALU_CYCLE_1)
	s_bitset1_b32 s0, 10
	s_mov_b32 m0, s0
	s_sendmsg sendmsg(MSG_INTERRUPT)
	s_mov_b32 m0, ttmp2
.LBB4_857:                              ; =>This Inner Loop Header: Depth=1
	s_sethalt 5
	s_branch .LBB4_857
.LBB4_858:
	s_trap 2
	s_sendmsg_rtn_b32 s0, sendmsg(MSG_RTN_GET_DOORBELL)
	s_mov_b32 ttmp2, m0
	s_waitcnt lgkmcnt(0)
	s_and_b32 s0, s0, 0x3ff
	s_delay_alu instid0(SALU_CYCLE_1) | instskip(NEXT) | instid1(SALU_CYCLE_1)
	s_bitset1_b32 s0, 10
	s_mov_b32 m0, s0
	s_sendmsg sendmsg(MSG_INTERRUPT)
	s_mov_b32 m0, ttmp2
.LBB4_859:                              ; =>This Inner Loop Header: Depth=1
	s_sethalt 5
	s_branch .LBB4_859
.LBB4_860:
	s_trap 2
	s_sendmsg_rtn_b32 s0, sendmsg(MSG_RTN_GET_DOORBELL)
	s_mov_b32 ttmp2, m0
	s_waitcnt lgkmcnt(0)
	s_and_b32 s0, s0, 0x3ff
	s_delay_alu instid0(SALU_CYCLE_1) | instskip(NEXT) | instid1(SALU_CYCLE_1)
	s_bitset1_b32 s0, 10
	s_mov_b32 m0, s0
	s_sendmsg sendmsg(MSG_INTERRUPT)
	s_mov_b32 m0, ttmp2
.LBB4_861:                              ; =>This Inner Loop Header: Depth=1
	s_sethalt 5
	s_branch .LBB4_861
.LBB4_862:
	s_trap 2
	s_sendmsg_rtn_b32 s0, sendmsg(MSG_RTN_GET_DOORBELL)
	s_mov_b32 ttmp2, m0
	s_waitcnt lgkmcnt(0)
	s_and_b32 s0, s0, 0x3ff
	s_delay_alu instid0(SALU_CYCLE_1) | instskip(NEXT) | instid1(SALU_CYCLE_1)
	s_bitset1_b32 s0, 10
	s_mov_b32 m0, s0
	s_sendmsg sendmsg(MSG_INTERRUPT)
	s_mov_b32 m0, ttmp2
.LBB4_863:                              ; =>This Inner Loop Header: Depth=1
	s_sethalt 5
	s_branch .LBB4_863
.LBB4_864:
	s_trap 2
	s_sendmsg_rtn_b32 s0, sendmsg(MSG_RTN_GET_DOORBELL)
	s_mov_b32 ttmp2, m0
	s_waitcnt lgkmcnt(0)
	s_and_b32 s0, s0, 0x3ff
	s_delay_alu instid0(SALU_CYCLE_1) | instskip(NEXT) | instid1(SALU_CYCLE_1)
	s_bitset1_b32 s0, 10
	s_mov_b32 m0, s0
	s_sendmsg sendmsg(MSG_INTERRUPT)
	s_mov_b32 m0, ttmp2
.LBB4_865:                              ; =>This Inner Loop Header: Depth=1
	s_sethalt 5
	s_branch .LBB4_865
.LBB4_866:
	s_trap 2
	s_sendmsg_rtn_b32 s0, sendmsg(MSG_RTN_GET_DOORBELL)
	s_mov_b32 ttmp2, m0
	s_waitcnt lgkmcnt(0)
	s_and_b32 s0, s0, 0x3ff
	s_delay_alu instid0(SALU_CYCLE_1) | instskip(NEXT) | instid1(SALU_CYCLE_1)
	s_bitset1_b32 s0, 10
	s_mov_b32 m0, s0
	s_sendmsg sendmsg(MSG_INTERRUPT)
	s_mov_b32 m0, ttmp2
.LBB4_867:                              ; =>This Inner Loop Header: Depth=1
	s_sethalt 5
	s_branch .LBB4_867
.LBB4_868:
	s_trap 2
	s_sendmsg_rtn_b32 s0, sendmsg(MSG_RTN_GET_DOORBELL)
	s_mov_b32 ttmp2, m0
	s_waitcnt lgkmcnt(0)
	s_and_b32 s0, s0, 0x3ff
	s_delay_alu instid0(SALU_CYCLE_1) | instskip(NEXT) | instid1(SALU_CYCLE_1)
	s_bitset1_b32 s0, 10
	s_mov_b32 m0, s0
	s_sendmsg sendmsg(MSG_INTERRUPT)
	s_mov_b32 m0, ttmp2
.LBB4_869:                              ; =>This Inner Loop Header: Depth=1
	s_sethalt 5
	s_branch .LBB4_869
.LBB4_870:
	s_trap 2
	s_sendmsg_rtn_b32 s0, sendmsg(MSG_RTN_GET_DOORBELL)
	s_mov_b32 ttmp2, m0
	s_waitcnt lgkmcnt(0)
	s_and_b32 s0, s0, 0x3ff
	s_delay_alu instid0(SALU_CYCLE_1) | instskip(NEXT) | instid1(SALU_CYCLE_1)
	s_bitset1_b32 s0, 10
	s_mov_b32 m0, s0
	s_sendmsg sendmsg(MSG_INTERRUPT)
	s_mov_b32 m0, ttmp2
.LBB4_871:                              ; =>This Inner Loop Header: Depth=1
	s_sethalt 5
	s_branch .LBB4_871
.LBB4_872:
	s_or_b32 exec_lo, exec_lo, s4
	s_and_saveexec_b32 s4, s5
	s_delay_alu instid0(SALU_CYCLE_1)
	s_xor_b32 s4, exec_lo, s4
	s_cbranch_execz .LBB4_874
; %bb.873:
	v_mov_b32_e32 v0, 1
	ds_store_b32 v0, v0
	s_cbranch_execnz .LBB4_916
.LBB4_874:
	s_or_b32 exec_lo, exec_lo, s3
	;;#ASMSTART
	s_wakeup
	;;#ASMEND
.LBB4_875:
	s_or_b32 exec_lo, exec_lo, s2
.LBB4_876:
	s_and_not1_saveexec_b32 s1, s1
	s_cbranch_execz .LBB4_878
; %bb.877:
	s_waitcnt lgkmcnt(0)
	s_waitcnt_vscnt null, 0x0
	buffer_gl1_inv
	buffer_gl0_inv
	s_barrier
.LBB4_878:
	s_or_b32 exec_lo, exec_lo, s0
.LBB4_879:
	s_and_not1_saveexec_b32 s21, s13
	s_cbranch_execz .LBB4_881
; %bb.880:
	s_getpc_b64 s[0:1]
	s_add_u32 s0, s0, __PRETTY_FUNCTION__._ZN10PrimitivesIf8FuncProdIfE12FanSymmetricILi1EELi0E11ProtoSimpleILi1ELi1ELi0ELi2ELi0ELi0EELi0ELb0ELi0ELi0ELi0EEC2EiiPKiS8_PKvPvmhhhP15ncclDevWorkCollP14ncclDevWorkP2pii@rel32@lo+4
	s_addc_u32 s1, s1, __PRETTY_FUNCTION__._ZN10PrimitivesIf8FuncProdIfE12FanSymmetricILi1EELi0E11ProtoSimpleILi1ELi1ELi0ELi2ELi0ELi0EELi0ELb0ELi0ELi0ELi0EEC2EiiPKiS8_PKvPvmhhhP15ncclDevWorkCollP14ncclDevWorkP2pii@rel32@hi+12
	s_delay_alu instid0(SALU_CYCLE_1) | instskip(SKIP_3) | instid1(SALU_CYCLE_1)
	v_dual_mov_b32 v0, s0 :: v_dual_mov_b32 v1, s1
	s_getpc_b64 s[2:3]
	s_add_u32 s2, s2, __assert_fail@rel32@lo+4
	s_addc_u32 s3, s3, __assert_fail@rel32@hi+12
	s_swappc_b64 s[30:31], s[2:3]
	; divergent unreachable
.LBB4_881:
	s_or_b32 exec_lo, exec_lo, s21
	scratch_load_b32 v40, off, s33          ; 4-byte Folded Reload
	v_readlane_b32 s30, v41, 0
	v_readlane_b32 s31, v41, 1
	;; [unrolled: 1-line block ×3, first 2 shown]
	s_or_saveexec_b32 s1, -1
	scratch_load_b32 v41, off, s33 offset:4 ; 4-byte Folded Reload
	s_mov_b32 exec_lo, s1
	s_add_i32 s32, s32, -16
	s_mov_b32 s33, s0
	s_waitcnt vmcnt(0) lgkmcnt(0)
	s_setpc_b64 s[30:31]
.LBB4_882:
	s_trap 2
	s_sendmsg_rtn_b32 s0, sendmsg(MSG_RTN_GET_DOORBELL)
	s_mov_b32 ttmp2, m0
	s_waitcnt lgkmcnt(0)
	s_and_b32 s0, s0, 0x3ff
	s_delay_alu instid0(SALU_CYCLE_1) | instskip(NEXT) | instid1(SALU_CYCLE_1)
	s_bitset1_b32 s0, 10
	s_mov_b32 m0, s0
	s_sendmsg sendmsg(MSG_INTERRUPT)
	s_mov_b32 m0, ttmp2
.LBB4_883:                              ; =>This Inner Loop Header: Depth=1
	s_sethalt 5
	s_branch .LBB4_883
.LBB4_884:
	s_trap 2
	s_sendmsg_rtn_b32 s0, sendmsg(MSG_RTN_GET_DOORBELL)
	s_mov_b32 ttmp2, m0
	s_waitcnt lgkmcnt(0)
	s_and_b32 s0, s0, 0x3ff
	s_delay_alu instid0(SALU_CYCLE_1) | instskip(NEXT) | instid1(SALU_CYCLE_1)
	s_bitset1_b32 s0, 10
	s_mov_b32 m0, s0
	s_sendmsg sendmsg(MSG_INTERRUPT)
	s_mov_b32 m0, ttmp2
.LBB4_885:                              ; =>This Inner Loop Header: Depth=1
	s_sethalt 5
	s_branch .LBB4_885
.LBB4_886:
	s_trap 2
	s_sendmsg_rtn_b32 s0, sendmsg(MSG_RTN_GET_DOORBELL)
	s_mov_b32 ttmp2, m0
	s_waitcnt lgkmcnt(0)
	s_and_b32 s0, s0, 0x3ff
	s_delay_alu instid0(SALU_CYCLE_1) | instskip(NEXT) | instid1(SALU_CYCLE_1)
	s_bitset1_b32 s0, 10
	s_mov_b32 m0, s0
	s_sendmsg sendmsg(MSG_INTERRUPT)
	s_mov_b32 m0, ttmp2
.LBB4_887:                              ; =>This Inner Loop Header: Depth=1
	s_sethalt 5
	s_branch .LBB4_887
.LBB4_888:
	s_trap 2
	s_sendmsg_rtn_b32 s0, sendmsg(MSG_RTN_GET_DOORBELL)
	s_mov_b32 ttmp2, m0
	s_waitcnt lgkmcnt(0)
	s_and_b32 s0, s0, 0x3ff
	s_delay_alu instid0(SALU_CYCLE_1) | instskip(NEXT) | instid1(SALU_CYCLE_1)
	s_bitset1_b32 s0, 10
	s_mov_b32 m0, s0
	s_sendmsg sendmsg(MSG_INTERRUPT)
	s_mov_b32 m0, ttmp2
.LBB4_889:                              ; =>This Inner Loop Header: Depth=1
	s_sethalt 5
	s_branch .LBB4_889
.LBB4_890:
	s_trap 2
	s_sendmsg_rtn_b32 s0, sendmsg(MSG_RTN_GET_DOORBELL)
	s_mov_b32 ttmp2, m0
	s_waitcnt lgkmcnt(0)
	s_and_b32 s0, s0, 0x3ff
	s_delay_alu instid0(SALU_CYCLE_1) | instskip(NEXT) | instid1(SALU_CYCLE_1)
	s_bitset1_b32 s0, 10
	s_mov_b32 m0, s0
	s_sendmsg sendmsg(MSG_INTERRUPT)
	s_mov_b32 m0, ttmp2
.LBB4_891:                              ; =>This Inner Loop Header: Depth=1
	s_sethalt 5
	s_branch .LBB4_891
.LBB4_892:
	s_trap 2
	s_sendmsg_rtn_b32 s0, sendmsg(MSG_RTN_GET_DOORBELL)
	s_mov_b32 ttmp2, m0
	s_waitcnt lgkmcnt(0)
	s_and_b32 s0, s0, 0x3ff
	s_delay_alu instid0(SALU_CYCLE_1) | instskip(NEXT) | instid1(SALU_CYCLE_1)
	s_bitset1_b32 s0, 10
	s_mov_b32 m0, s0
	s_sendmsg sendmsg(MSG_INTERRUPT)
	s_mov_b32 m0, ttmp2
.LBB4_893:                              ; =>This Inner Loop Header: Depth=1
	s_sethalt 5
	s_branch .LBB4_893
.LBB4_894:
	s_trap 2
	s_sendmsg_rtn_b32 s0, sendmsg(MSG_RTN_GET_DOORBELL)
	s_mov_b32 ttmp2, m0
	s_waitcnt lgkmcnt(0)
	s_and_b32 s0, s0, 0x3ff
	s_delay_alu instid0(SALU_CYCLE_1) | instskip(NEXT) | instid1(SALU_CYCLE_1)
	s_bitset1_b32 s0, 10
	s_mov_b32 m0, s0
	s_sendmsg sendmsg(MSG_INTERRUPT)
	s_mov_b32 m0, ttmp2
.LBB4_895:                              ; =>This Inner Loop Header: Depth=1
	s_sethalt 5
	s_branch .LBB4_895
.LBB4_896:
	s_trap 2
	s_sendmsg_rtn_b32 s0, sendmsg(MSG_RTN_GET_DOORBELL)
	s_mov_b32 ttmp2, m0
	s_waitcnt lgkmcnt(0)
	s_and_b32 s0, s0, 0x3ff
	s_delay_alu instid0(SALU_CYCLE_1) | instskip(NEXT) | instid1(SALU_CYCLE_1)
	s_bitset1_b32 s0, 10
	s_mov_b32 m0, s0
	s_sendmsg sendmsg(MSG_INTERRUPT)
	s_mov_b32 m0, ttmp2
.LBB4_897:                              ; =>This Inner Loop Header: Depth=1
	s_sethalt 5
	s_branch .LBB4_897
.LBB4_898:
	s_trap 2
	s_sendmsg_rtn_b32 s0, sendmsg(MSG_RTN_GET_DOORBELL)
	s_mov_b32 ttmp2, m0
	s_waitcnt lgkmcnt(0)
	s_and_b32 s0, s0, 0x3ff
	s_delay_alu instid0(SALU_CYCLE_1) | instskip(NEXT) | instid1(SALU_CYCLE_1)
	s_bitset1_b32 s0, 10
	s_mov_b32 m0, s0
	s_sendmsg sendmsg(MSG_INTERRUPT)
	s_mov_b32 m0, ttmp2
.LBB4_899:                              ; =>This Inner Loop Header: Depth=1
	s_sethalt 5
	s_branch .LBB4_899
.LBB4_900:
	s_trap 2
	s_sendmsg_rtn_b32 s0, sendmsg(MSG_RTN_GET_DOORBELL)
	s_mov_b32 ttmp2, m0
	s_waitcnt lgkmcnt(0)
	s_and_b32 s0, s0, 0x3ff
	s_delay_alu instid0(SALU_CYCLE_1) | instskip(NEXT) | instid1(SALU_CYCLE_1)
	s_bitset1_b32 s0, 10
	s_mov_b32 m0, s0
	s_sendmsg sendmsg(MSG_INTERRUPT)
	s_mov_b32 m0, ttmp2
.LBB4_901:                              ; =>This Inner Loop Header: Depth=1
	s_sethalt 5
	s_branch .LBB4_901
.LBB4_902:
	s_trap 2
	s_sendmsg_rtn_b32 s0, sendmsg(MSG_RTN_GET_DOORBELL)
	s_mov_b32 ttmp2, m0
	s_waitcnt lgkmcnt(0)
	s_and_b32 s0, s0, 0x3ff
	s_delay_alu instid0(SALU_CYCLE_1) | instskip(NEXT) | instid1(SALU_CYCLE_1)
	s_bitset1_b32 s0, 10
	s_mov_b32 m0, s0
	s_sendmsg sendmsg(MSG_INTERRUPT)
	s_mov_b32 m0, ttmp2
.LBB4_903:                              ; =>This Inner Loop Header: Depth=1
	s_sethalt 5
	s_branch .LBB4_903
.LBB4_904:
	s_trap 2
	s_sendmsg_rtn_b32 s0, sendmsg(MSG_RTN_GET_DOORBELL)
	s_mov_b32 ttmp2, m0
	s_waitcnt lgkmcnt(0)
	s_and_b32 s0, s0, 0x3ff
	s_delay_alu instid0(SALU_CYCLE_1) | instskip(NEXT) | instid1(SALU_CYCLE_1)
	s_bitset1_b32 s0, 10
	s_mov_b32 m0, s0
	s_sendmsg sendmsg(MSG_INTERRUPT)
	s_mov_b32 m0, ttmp2
.LBB4_905:                              ; =>This Inner Loop Header: Depth=1
	s_sethalt 5
	s_branch .LBB4_905
.LBB4_906:
	s_trap 2
	s_sendmsg_rtn_b32 s0, sendmsg(MSG_RTN_GET_DOORBELL)
	s_mov_b32 ttmp2, m0
	s_waitcnt lgkmcnt(0)
	s_and_b32 s0, s0, 0x3ff
	s_delay_alu instid0(SALU_CYCLE_1) | instskip(NEXT) | instid1(SALU_CYCLE_1)
	s_bitset1_b32 s0, 10
	s_mov_b32 m0, s0
	s_sendmsg sendmsg(MSG_INTERRUPT)
	s_mov_b32 m0, ttmp2
.LBB4_907:                              ; =>This Inner Loop Header: Depth=1
	s_sethalt 5
	s_branch .LBB4_907
.LBB4_908:
	s_trap 2
	s_sendmsg_rtn_b32 s0, sendmsg(MSG_RTN_GET_DOORBELL)
	s_mov_b32 ttmp2, m0
	s_waitcnt lgkmcnt(0)
	s_and_b32 s0, s0, 0x3ff
	s_delay_alu instid0(SALU_CYCLE_1) | instskip(NEXT) | instid1(SALU_CYCLE_1)
	s_bitset1_b32 s0, 10
	s_mov_b32 m0, s0
	s_sendmsg sendmsg(MSG_INTERRUPT)
	s_mov_b32 m0, ttmp2
.LBB4_909:                              ; =>This Inner Loop Header: Depth=1
	s_sethalt 5
	s_branch .LBB4_909
.LBB4_910:
	s_trap 2
	s_sendmsg_rtn_b32 s0, sendmsg(MSG_RTN_GET_DOORBELL)
	s_mov_b32 ttmp2, m0
	s_waitcnt lgkmcnt(0)
	s_and_b32 s0, s0, 0x3ff
	s_delay_alu instid0(SALU_CYCLE_1) | instskip(NEXT) | instid1(SALU_CYCLE_1)
	s_bitset1_b32 s0, 10
	s_mov_b32 m0, s0
	s_sendmsg sendmsg(MSG_INTERRUPT)
	s_mov_b32 m0, ttmp2
.LBB4_911:                              ; =>This Inner Loop Header: Depth=1
	s_sethalt 5
	s_branch .LBB4_911
.LBB4_912:
	s_trap 2
	s_sendmsg_rtn_b32 s0, sendmsg(MSG_RTN_GET_DOORBELL)
	s_mov_b32 ttmp2, m0
	s_waitcnt lgkmcnt(0)
	s_and_b32 s0, s0, 0x3ff
	s_delay_alu instid0(SALU_CYCLE_1) | instskip(NEXT) | instid1(SALU_CYCLE_1)
	s_bitset1_b32 s0, 10
	s_mov_b32 m0, s0
	s_sendmsg sendmsg(MSG_INTERRUPT)
	s_mov_b32 m0, ttmp2
.LBB4_913:                              ; =>This Inner Loop Header: Depth=1
	s_sethalt 5
	s_branch .LBB4_913
.LBB4_914:
	s_trap 2
	s_sendmsg_rtn_b32 s0, sendmsg(MSG_RTN_GET_DOORBELL)
	s_mov_b32 ttmp2, m0
	s_waitcnt lgkmcnt(0)
	s_and_b32 s0, s0, 0x3ff
	s_delay_alu instid0(SALU_CYCLE_1) | instskip(NEXT) | instid1(SALU_CYCLE_1)
	s_bitset1_b32 s0, 10
	s_mov_b32 m0, s0
	s_sendmsg sendmsg(MSG_INTERRUPT)
	s_mov_b32 m0, ttmp2
.LBB4_915:                              ; =>This Inner Loop Header: Depth=1
	s_sethalt 5
	s_branch .LBB4_915
.LBB4_916:
	s_trap 2
	s_sendmsg_rtn_b32 s0, sendmsg(MSG_RTN_GET_DOORBELL)
	s_mov_b32 ttmp2, m0
	s_waitcnt lgkmcnt(0)
	s_and_b32 s0, s0, 0x3ff
	s_delay_alu instid0(SALU_CYCLE_1) | instskip(NEXT) | instid1(SALU_CYCLE_1)
	s_bitset1_b32 s0, 10
	s_mov_b32 m0, s0
	s_sendmsg sendmsg(MSG_INTERRUPT)
	s_mov_b32 m0, ttmp2
.LBB4_917:                              ; =>This Inner Loop Header: Depth=1
	s_sethalt 5
	s_branch .LBB4_917
.LBB4_918:
	s_trap 2
	s_sendmsg_rtn_b32 s0, sendmsg(MSG_RTN_GET_DOORBELL)
	s_mov_b32 ttmp2, m0
	s_waitcnt lgkmcnt(0)
	s_and_b32 s0, s0, 0x3ff
	s_delay_alu instid0(SALU_CYCLE_1) | instskip(NEXT) | instid1(SALU_CYCLE_1)
	s_bitset1_b32 s0, 10
	s_mov_b32 m0, s0
	s_sendmsg sendmsg(MSG_INTERRUPT)
	s_mov_b32 m0, ttmp2
.LBB4_919:                              ; =>This Inner Loop Header: Depth=1
	s_sethalt 5
	s_branch .LBB4_919
.LBB4_920:
	s_trap 2
	s_sendmsg_rtn_b32 s0, sendmsg(MSG_RTN_GET_DOORBELL)
	s_mov_b32 ttmp2, m0
	s_waitcnt lgkmcnt(0)
	s_and_b32 s0, s0, 0x3ff
	s_delay_alu instid0(SALU_CYCLE_1) | instskip(NEXT) | instid1(SALU_CYCLE_1)
	s_bitset1_b32 s0, 10
	s_mov_b32 m0, s0
	s_sendmsg sendmsg(MSG_INTERRUPT)
	s_mov_b32 m0, ttmp2
.LBB4_921:                              ; =>This Inner Loop Header: Depth=1
	s_sethalt 5
	s_branch .LBB4_921
.LBB4_922:
	s_trap 2
	s_sendmsg_rtn_b32 s0, sendmsg(MSG_RTN_GET_DOORBELL)
	s_mov_b32 ttmp2, m0
	s_waitcnt lgkmcnt(0)
	s_and_b32 s0, s0, 0x3ff
	s_delay_alu instid0(SALU_CYCLE_1) | instskip(NEXT) | instid1(SALU_CYCLE_1)
	s_bitset1_b32 s0, 10
	s_mov_b32 m0, s0
	s_sendmsg sendmsg(MSG_INTERRUPT)
	s_mov_b32 m0, ttmp2
.LBB4_923:                              ; =>This Inner Loop Header: Depth=1
	s_sethalt 5
	s_branch .LBB4_923
.LBB4_924:
	s_trap 2
	s_sendmsg_rtn_b32 s0, sendmsg(MSG_RTN_GET_DOORBELL)
	s_mov_b32 ttmp2, m0
	s_waitcnt lgkmcnt(0)
	s_and_b32 s0, s0, 0x3ff
	s_delay_alu instid0(SALU_CYCLE_1) | instskip(NEXT) | instid1(SALU_CYCLE_1)
	s_bitset1_b32 s0, 10
	s_mov_b32 m0, s0
	s_sendmsg sendmsg(MSG_INTERRUPT)
	s_mov_b32 m0, ttmp2
.LBB4_925:                              ; =>This Inner Loop Header: Depth=1
	s_sethalt 5
	s_branch .LBB4_925
.LBB4_926:
	s_trap 2
	s_sendmsg_rtn_b32 s0, sendmsg(MSG_RTN_GET_DOORBELL)
	s_mov_b32 ttmp2, m0
	s_waitcnt lgkmcnt(0)
	s_and_b32 s0, s0, 0x3ff
	s_delay_alu instid0(SALU_CYCLE_1) | instskip(NEXT) | instid1(SALU_CYCLE_1)
	s_bitset1_b32 s0, 10
	s_mov_b32 m0, s0
	s_sendmsg sendmsg(MSG_INTERRUPT)
	s_mov_b32 m0, ttmp2
.LBB4_927:                              ; =>This Inner Loop Header: Depth=1
	s_sethalt 5
	s_branch .LBB4_927
.LBB4_928:
	s_trap 2
	s_sendmsg_rtn_b32 s0, sendmsg(MSG_RTN_GET_DOORBELL)
	s_mov_b32 ttmp2, m0
	s_waitcnt lgkmcnt(0)
	s_and_b32 s0, s0, 0x3ff
	s_delay_alu instid0(SALU_CYCLE_1) | instskip(NEXT) | instid1(SALU_CYCLE_1)
	s_bitset1_b32 s0, 10
	s_mov_b32 m0, s0
	s_sendmsg sendmsg(MSG_INTERRUPT)
	s_mov_b32 m0, ttmp2
.LBB4_929:                              ; =>This Inner Loop Header: Depth=1
	s_sethalt 5
	s_branch .LBB4_929
.LBB4_930:
	s_trap 2
	s_sendmsg_rtn_b32 s0, sendmsg(MSG_RTN_GET_DOORBELL)
	s_mov_b32 ttmp2, m0
	s_waitcnt lgkmcnt(0)
	s_and_b32 s0, s0, 0x3ff
	s_delay_alu instid0(SALU_CYCLE_1) | instskip(NEXT) | instid1(SALU_CYCLE_1)
	s_bitset1_b32 s0, 10
	s_mov_b32 m0, s0
	s_sendmsg sendmsg(MSG_INTERRUPT)
	s_mov_b32 m0, ttmp2
.LBB4_931:                              ; =>This Inner Loop Header: Depth=1
	s_sethalt 5
	s_branch .LBB4_931
.LBB4_932:
	s_trap 2
	s_sendmsg_rtn_b32 s0, sendmsg(MSG_RTN_GET_DOORBELL)
	s_mov_b32 ttmp2, m0
	s_waitcnt lgkmcnt(0)
	s_and_b32 s0, s0, 0x3ff
	s_delay_alu instid0(SALU_CYCLE_1) | instskip(NEXT) | instid1(SALU_CYCLE_1)
	s_bitset1_b32 s0, 10
	s_mov_b32 m0, s0
	s_sendmsg sendmsg(MSG_INTERRUPT)
	s_mov_b32 m0, ttmp2
.LBB4_933:                              ; =>This Inner Loop Header: Depth=1
	s_sethalt 5
	s_branch .LBB4_933
.LBB4_934:
	s_trap 2
	s_sendmsg_rtn_b32 s0, sendmsg(MSG_RTN_GET_DOORBELL)
	s_mov_b32 ttmp2, m0
	s_waitcnt lgkmcnt(0)
	s_and_b32 s0, s0, 0x3ff
	s_delay_alu instid0(SALU_CYCLE_1) | instskip(NEXT) | instid1(SALU_CYCLE_1)
	s_bitset1_b32 s0, 10
	s_mov_b32 m0, s0
	s_sendmsg sendmsg(MSG_INTERRUPT)
	s_mov_b32 m0, ttmp2
.LBB4_935:                              ; =>This Inner Loop Header: Depth=1
	s_sethalt 5
	s_branch .LBB4_935
.LBB4_936:
	s_trap 2
	s_sendmsg_rtn_b32 s0, sendmsg(MSG_RTN_GET_DOORBELL)
	s_mov_b32 ttmp2, m0
	s_waitcnt lgkmcnt(0)
	s_and_b32 s0, s0, 0x3ff
	s_delay_alu instid0(SALU_CYCLE_1) | instskip(NEXT) | instid1(SALU_CYCLE_1)
	s_bitset1_b32 s0, 10
	s_mov_b32 m0, s0
	s_sendmsg sendmsg(MSG_INTERRUPT)
	s_mov_b32 m0, ttmp2
.LBB4_937:                              ; =>This Inner Loop Header: Depth=1
	s_sethalt 5
	s_branch .LBB4_937
.LBB4_938:
	s_trap 2
	s_sendmsg_rtn_b32 s0, sendmsg(MSG_RTN_GET_DOORBELL)
	s_mov_b32 ttmp2, m0
	s_waitcnt lgkmcnt(0)
	s_and_b32 s0, s0, 0x3ff
	s_delay_alu instid0(SALU_CYCLE_1) | instskip(NEXT) | instid1(SALU_CYCLE_1)
	s_bitset1_b32 s0, 10
	s_mov_b32 m0, s0
	s_sendmsg sendmsg(MSG_INTERRUPT)
	s_mov_b32 m0, ttmp2
.LBB4_939:                              ; =>This Inner Loop Header: Depth=1
	s_sethalt 5
	s_branch .LBB4_939
.LBB4_940:
	s_trap 2
	s_sendmsg_rtn_b32 s0, sendmsg(MSG_RTN_GET_DOORBELL)
	s_mov_b32 ttmp2, m0
	s_waitcnt lgkmcnt(0)
	s_and_b32 s0, s0, 0x3ff
	s_delay_alu instid0(SALU_CYCLE_1) | instskip(NEXT) | instid1(SALU_CYCLE_1)
	s_bitset1_b32 s0, 10
	s_mov_b32 m0, s0
	s_sendmsg sendmsg(MSG_INTERRUPT)
	s_mov_b32 m0, ttmp2
.LBB4_941:                              ; =>This Inner Loop Header: Depth=1
	s_sethalt 5
	s_branch .LBB4_941
.LBB4_942:
	s_trap 2
	s_sendmsg_rtn_b32 s0, sendmsg(MSG_RTN_GET_DOORBELL)
	s_mov_b32 ttmp2, m0
	s_waitcnt lgkmcnt(0)
	s_and_b32 s0, s0, 0x3ff
	s_delay_alu instid0(SALU_CYCLE_1) | instskip(NEXT) | instid1(SALU_CYCLE_1)
	s_bitset1_b32 s0, 10
	s_mov_b32 m0, s0
	s_sendmsg sendmsg(MSG_INTERRUPT)
	s_mov_b32 m0, ttmp2
.LBB4_943:                              ; =>This Inner Loop Header: Depth=1
	s_sethalt 5
	s_branch .LBB4_943
.LBB4_944:
	s_trap 2
	s_sendmsg_rtn_b32 s0, sendmsg(MSG_RTN_GET_DOORBELL)
	s_mov_b32 ttmp2, m0
	s_waitcnt lgkmcnt(0)
	s_and_b32 s0, s0, 0x3ff
	s_delay_alu instid0(SALU_CYCLE_1) | instskip(NEXT) | instid1(SALU_CYCLE_1)
	s_bitset1_b32 s0, 10
	s_mov_b32 m0, s0
	s_sendmsg sendmsg(MSG_INTERRUPT)
	s_mov_b32 m0, ttmp2
.LBB4_945:                              ; =>This Inner Loop Header: Depth=1
	s_sethalt 5
	s_branch .LBB4_945
.Lfunc_end4:
	.size	_ZN12_GLOBAL__N_17runRingIf8FuncProdIfE11ProtoSimpleILi1ELi1ELi0ELi2ELi0ELi0EELi0ELi2ELi0EEEviiP15ncclDevWorkColl, .Lfunc_end4-_ZN12_GLOBAL__N_17runRingIf8FuncProdIfE11ProtoSimpleILi1ELi1ELi0ELi2ELi0ELi0EELi0ELi2ELi0EEEviiP15ncclDevWorkColl
                                        ; -- End function
	.section	.AMDGPU.csdata,"",@progbits
; Function info:
; codeLenInByte = 26736
; NumSgprs: 36
; NumVgprs: 120
; ScratchSize: 80
; MemoryBound: 1
	.text
	.p2align	2                               ; -- Begin function _Z45ncclDevFunc_Reduce_RING_SIMPLE_Prod_f32_0_0_2v
	.type	_Z45ncclDevFunc_Reduce_RING_SIMPLE_Prod_f32_0_0_2v,@function
_Z45ncclDevFunc_Reduce_RING_SIMPLE_Prod_f32_0_0_2v: ; @_Z45ncclDevFunc_Reduce_RING_SIMPLE_Prod_f32_0_0_2v
; %bb.0:
	s_waitcnt vmcnt(0) expcnt(0) lgkmcnt(0)
	s_mov_b32 s0, s33
	s_mov_b32 s33, s32
	s_or_saveexec_b32 s1, -1
	scratch_store_b32 off, v40, s33 offset:4 ; 4-byte Folded Spill
	s_mov_b32 exec_lo, s1
	v_writelane_b32 v40, s0, 8
	s_add_i32 s32, s32, 16
	scratch_store_b32 off, v41, s33         ; 4-byte Folded Spill
	v_writelane_b32 v40, s34, 0
	v_writelane_b32 v40, s35, 1
	;; [unrolled: 1-line block ×8, first 2 shown]
	s_cbranch_execnz .LBB5_13
; %bb.1:
	ds_load_b32 v0, v0
	s_waitcnt lgkmcnt(0)
	v_cmp_gt_i32_e32 vcc_lo, 1, v0
	s_cbranch_vccnz .LBB5_12
; %bb.2:
	v_and_b32_e32 v128, 0x3ff, v31
	s_mov_b32 s38, 0
	s_mov_b64 s[36:37], src_shared_base
.LBB5_3:                                ; =>This Inner Loop Header: Depth=1
	s_cbranch_execnz .LBB5_15
; %bb.4:                                ;   in Loop: Header=BB5_3 Depth=1
	ds_load_b32 v0, v0
	s_cmp_eq_u32 s38, 0
	s_cbranch_scc1 .LBB5_8
; %bb.5:                                ;   in Loop: Header=BB5_3 Depth=1
	s_cbranch_execnz .LBB5_19
; %bb.6:                                ;   in Loop: Header=BB5_3 Depth=1
	s_waitcnt lgkmcnt(0)
	ds_load_b32 v1, v0
	s_waitcnt lgkmcnt(0)
	v_xor_b32_e32 v1, v1, v0
	s_delay_alu instid0(VALU_DEP_1) | instskip(NEXT) | instid1(VALU_DEP_1)
	v_and_b32_e32 v1, 0xff0000, v1
	v_cmp_eq_u32_e32 vcc_lo, 0, v1
	s_cbranch_vccnz .LBB5_8
; %bb.7:                                ;   in Loop: Header=BB5_3 Depth=1
	s_waitcnt_vscnt null, 0x0
	s_barrier
	buffer_gl0_inv
	ds_load_b32 v0, v0
.LBB5_8:                                ;   in Loop: Header=BB5_3 Depth=1
	s_waitcnt lgkmcnt(0)
	v_lshrrev_b32_e32 v0, 11, v0
	s_mov_b32 s39, exec_lo
	s_delay_alu instid0(VALU_DEP_1) | instskip(NEXT) | instid1(VALU_DEP_1)
	v_and_b32_e32 v1, 0x1fe0, v0
	v_cmpx_lt_u32_e64 v128, v1
	s_cbranch_execz .LBB5_10
; %bb.9:                                ;   in Loop: Header=BB5_3 Depth=1
	v_dual_mov_b32 v129, v31 :: v_dual_mov_b32 v0, v128
	v_mov_b32_e32 v3, s37
	s_getpc_b64 s[0:1]
	s_add_u32 s0, s0, _ZN12_GLOBAL__N_17runRingIf8FuncProdIfE11ProtoSimpleILi1ELi1ELi0ELi2ELi0ELi0EELi0ELi2ELi0EEEviiP15ncclDevWorkColl@rel32@lo+4
	s_addc_u32 s1, s1, _ZN12_GLOBAL__N_17runRingIf8FuncProdIfE11ProtoSimpleILi1ELi1ELi0ELi2ELi0ELi0EELi0ELi2ELi0EEEviiP15ncclDevWorkColl@rel32@hi+12
	s_mov_b64 s[34:35], s[8:9]
	s_mov_b32 s36, s12
	s_swappc_b64 s[30:31], s[0:1]
	v_mov_b32_e32 v31, v129
	s_mov_b32 s12, s36
	s_mov_b64 s[8:9], s[34:35]
.LBB5_10:                               ;   in Loop: Header=BB5_3 Depth=1
	s_or_b32 exec_lo, exec_lo, s39
	s_cbranch_execnz .LBB5_17
; %bb.11:                               ;   in Loop: Header=BB5_3 Depth=1
	ds_load_b32 v0, v0
	s_add_i32 s38, s38, 1
	s_waitcnt lgkmcnt(0)
	v_cmp_lt_i32_e32 vcc_lo, s38, v0
	s_cbranch_vccnz .LBB5_3
.LBB5_12:
	scratch_load_b32 v41, off, s33          ; 4-byte Folded Reload
	v_readlane_b32 s30, v40, 6
	v_readlane_b32 s31, v40, 7
	;; [unrolled: 1-line block ×9, first 2 shown]
	s_or_saveexec_b32 s1, -1
	scratch_load_b32 v40, off, s33 offset:4 ; 4-byte Folded Reload
	s_mov_b32 exec_lo, s1
	s_add_i32 s32, s32, -16
	s_mov_b32 s33, s0
	s_waitcnt vmcnt(0)
	s_setpc_b64 s[30:31]
.LBB5_13:
	s_trap 2
	s_sendmsg_rtn_b32 s0, sendmsg(MSG_RTN_GET_DOORBELL)
	s_mov_b32 ttmp2, m0
	s_waitcnt lgkmcnt(0)
	s_and_b32 s0, s0, 0x3ff
	s_delay_alu instid0(SALU_CYCLE_1) | instskip(NEXT) | instid1(SALU_CYCLE_1)
	s_bitset1_b32 s0, 10
	s_mov_b32 m0, s0
	s_sendmsg sendmsg(MSG_INTERRUPT)
	s_mov_b32 m0, ttmp2
.LBB5_14:                               ; =>This Inner Loop Header: Depth=1
	s_sethalt 5
	s_branch .LBB5_14
.LBB5_15:
	s_trap 2
	s_sendmsg_rtn_b32 s0, sendmsg(MSG_RTN_GET_DOORBELL)
	s_mov_b32 ttmp2, m0
	s_waitcnt lgkmcnt(0)
	s_and_b32 s0, s0, 0x3ff
	s_delay_alu instid0(SALU_CYCLE_1) | instskip(NEXT) | instid1(SALU_CYCLE_1)
	s_bitset1_b32 s0, 10
	s_mov_b32 m0, s0
	s_sendmsg sendmsg(MSG_INTERRUPT)
	s_mov_b32 m0, ttmp2
.LBB5_16:                               ; =>This Inner Loop Header: Depth=1
	s_sethalt 5
	s_branch .LBB5_16
.LBB5_17:
	s_trap 2
	s_sendmsg_rtn_b32 s0, sendmsg(MSG_RTN_GET_DOORBELL)
	s_mov_b32 ttmp2, m0
	s_waitcnt lgkmcnt(0)
	s_and_b32 s0, s0, 0x3ff
	s_delay_alu instid0(SALU_CYCLE_1) | instskip(NEXT) | instid1(SALU_CYCLE_1)
	s_bitset1_b32 s0, 10
	s_mov_b32 m0, s0
	s_sendmsg sendmsg(MSG_INTERRUPT)
	s_mov_b32 m0, ttmp2
.LBB5_18:                               ; =>This Inner Loop Header: Depth=1
	s_sethalt 5
	s_branch .LBB5_18
.LBB5_19:
	s_trap 2
	s_sendmsg_rtn_b32 s0, sendmsg(MSG_RTN_GET_DOORBELL)
	s_mov_b32 ttmp2, m0
	s_waitcnt lgkmcnt(0)
	s_and_b32 s0, s0, 0x3ff
	s_delay_alu instid0(SALU_CYCLE_1) | instskip(NEXT) | instid1(SALU_CYCLE_1)
	s_bitset1_b32 s0, 10
	s_mov_b32 m0, s0
	s_sendmsg sendmsg(MSG_INTERRUPT)
	s_mov_b32 m0, ttmp2
.LBB5_20:                               ; =>This Inner Loop Header: Depth=1
	s_sethalt 5
	s_branch .LBB5_20
.Lfunc_end5:
	.size	_Z45ncclDevFunc_Reduce_RING_SIMPLE_Prod_f32_0_0_2v, .Lfunc_end5-_Z45ncclDevFunc_Reduce_RING_SIMPLE_Prod_f32_0_0_2v
                                        ; -- End function
	.section	.AMDGPU.csdata,"",@progbits
; Function info:
; codeLenInByte = 684
; NumSgprs: 42
; NumVgprs: 130
; ScratchSize: 96
; MemoryBound: 0
	.text
	.p2align	2                               ; -- Begin function _ZN12_GLOBAL__N_17runRingIf8FuncProdIfE11ProtoSimpleILi1ELi1ELi0ELi4ELi0ELi0EELi0ELi4ELi0EEEviiP15ncclDevWorkColl
	.type	_ZN12_GLOBAL__N_17runRingIf8FuncProdIfE11ProtoSimpleILi1ELi1ELi0ELi4ELi0ELi0EELi0ELi4ELi0EEEviiP15ncclDevWorkColl,@function
_ZN12_GLOBAL__N_17runRingIf8FuncProdIfE11ProtoSimpleILi1ELi1ELi0ELi4ELi0ELi0EELi0ELi4ELi0EEEviiP15ncclDevWorkColl: ; @_ZN12_GLOBAL__N_17runRingIf8FuncProdIfE11ProtoSimpleILi1ELi1ELi0ELi4ELi0ELi0EELi0ELi4ELi0EEEviiP15ncclDevWorkColl
; %bb.0:
	s_waitcnt vmcnt(0) expcnt(0) lgkmcnt(0)
	s_mov_b32 s0, s33
	s_mov_b32 s33, s32
	s_or_saveexec_b32 s1, -1
	scratch_store_b32 off, v41, s33 offset:4 ; 4-byte Folded Spill
	s_mov_b32 exec_lo, s1
	v_writelane_b32 v41, s0, 2
	s_add_i32 s32, s32, 16
	scratch_store_b32 off, v40, s33         ; 4-byte Folded Spill
	v_writelane_b32 v41, s30, 0
	v_writelane_b32 v41, s31, 1
	s_cbranch_execnz .LBB6_660
; %bb.1:
	ds_load_b64 v[26:27], v0
	ds_load_b32 v9, v0
	flat_load_b64 v[6:7], v[2:3]
	s_mov_b32 s0, exec_lo
                                        ; implicit-def: $vgpr29_vgpr30
                                        ; implicit-def: $vgpr24_vgpr25
	s_waitcnt lgkmcnt(2)
	v_ashrrev_i32_e32 v5, 31, v27
	v_mov_b32_e32 v4, v27
	s_delay_alu instid0(VALU_DEP_1) | instskip(NEXT) | instid1(VALU_DEP_1)
	v_lshlrev_b64 v[4:5], 2, v[4:5]
	v_add_co_u32 v4, vcc_lo, v26, v4
	s_delay_alu instid0(VALU_DEP_2) | instskip(NEXT) | instid1(VALU_DEP_2)
	v_add_co_ci_u32_e32 v5, vcc_lo, v27, v5, vcc_lo
	v_add_co_u32 v4, vcc_lo, -4, v4
	s_delay_alu instid0(VALU_DEP_2) | instskip(SKIP_4) | instid1(VALU_DEP_1)
	v_add_co_ci_u32_e32 v5, vcc_lo, -1, v5, vcc_lo
	flat_load_u16 v28, v[2:3] offset:8
	flat_load_b32 v36, v[4:5]
                                        ; implicit-def: $vgpr4_vgpr5
	s_waitcnt vmcnt(2) lgkmcnt(2)
	v_dual_mov_b32 v27, v7 :: v_dual_and_b32 v8, 0xff, v6
	v_cmpx_ne_u32_e64 v8, v9
	s_xor_b32 s0, exec_lo, s0
	s_cbranch_execnz .LBB6_662
; %bb.2:
	s_and_not1_saveexec_b32 s0, s0
	s_cbranch_execnz .LBB6_667
.LBB6_3:
	s_or_b32 exec_lo, exec_lo, s0
	s_cbranch_execnz .LBB6_668
.LBB6_4:
	ds_load_b64 v[6:7], v0
	s_mov_b32 s1, exec_lo
	s_waitcnt lgkmcnt(0)
	v_cmp_ne_u32_e32 vcc_lo, -1, v6
	v_cndmask_b32_e64 v30, 0, 1, vcc_lo
	v_cmp_ne_u32_e32 vcc_lo, -1, v7
	s_delay_alu instid0(VALU_DEP_2) | instskip(NEXT) | instid1(VALU_DEP_1)
	v_add_co_ci_u32_e64 v6, s0, 0, v30, vcc_lo
	v_lshlrev_b32_e32 v7, 1, v6
	s_delay_alu instid0(VALU_DEP_1)
	v_cmpx_le_i32_e64 v7, v1
	s_xor_b32 s13, exec_lo, s1
	s_cbranch_execz .LBB6_879
; %bb.5:
	s_clause 0x1
	flat_load_b128 v[10:13], v[2:3] offset:16
	flat_load_b64 v[32:33], v[2:3] offset:104
	s_cbranch_execnz .LBB6_670
; %bb.6:
	s_load_b32 s0, s[8:9], 0x0
	v_mov_b32_e32 v2, 0
	v_mov_b32_e32 v38, 4
	s_mov_b32 s2, exec_lo
	s_waitcnt lgkmcnt(0)
	s_cmp_lt_u32 s12, s0
	s_cselect_b32 s0, 12, 18
	s_delay_alu instid0(SALU_CYCLE_1)
	s_add_u32 s0, s8, s0
	s_addc_u32 s1, s9, 0
	global_load_u16 v37, v2, s[0:1]
	ds_load_b32 v2, v0
	s_waitcnt lgkmcnt(0)
	v_readfirstlane_b32 s1, v2
	v_cmpx_ge_i32_e64 v0, v30
	s_cbranch_execz .LBB6_16
; %bb.7:
	v_cmp_le_u32_e64 s0, v6, v0
                                        ; implicit-def: $vgpr38
	s_delay_alu instid0(VALU_DEP_1) | instskip(NEXT) | instid1(SALU_CYCLE_1)
	s_and_saveexec_b32 s3, s0
	s_xor_b32 s0, exec_lo, s3
	s_cbranch_execz .LBB6_13
; %bb.8:
	v_cndmask_b32_e64 v2, 0, 1, vcc_lo
	s_mov_b32 s3, exec_lo
                                        ; implicit-def: $sgpr4
	s_delay_alu instid0(VALU_DEP_1) | instskip(NEXT) | instid1(VALU_DEP_1)
	v_sub_nc_u32_e32 v2, v1, v2
	v_cmpx_ge_u32_e64 v0, v2
	s_xor_b32 s3, exec_lo, s3
; %bb.9:
	s_mov_b32 s4, 16
                                        ; implicit-def: $vgpr6
; %bb.10:
	s_or_saveexec_b32 s3, s3
	v_mov_b32_e32 v38, s4
	s_xor_b32 exec_lo, exec_lo, s3
; %bb.11:
	v_sub_nc_u32_e32 v2, v1, v6
	s_delay_alu instid0(VALU_DEP_1) | instskip(SKIP_1) | instid1(VALU_DEP_1)
	v_cmp_ge_i32_e32 vcc_lo, v0, v2
	v_cndmask_b32_e64 v2, 0, 1, vcc_lo
	v_lshlrev_b32_e32 v38, 5, v2
; %bb.12:
	s_or_b32 exec_lo, exec_lo, s3
.LBB6_13:
	s_and_not1_saveexec_b32 s0, s0
; %bb.14:
	v_mov_b32_e32 v38, 8
; %bb.15:
	s_or_b32 exec_lo, exec_lo, s0
.LBB6_16:
	s_delay_alu instid0(SALU_CYCLE_1) | instskip(NEXT) | instid1(VALU_DEP_1)
	s_or_b32 exec_lo, exec_lo, s2
	v_and_b32_e32 v2, 36, v38
	v_mov_b32_e32 v34, -1
	s_delay_alu instid0(VALU_DEP_2)
	v_cmp_ne_u32_e32 vcc_lo, 0, v2
	s_and_saveexec_b32 s0, vcc_lo
	s_cbranch_execz .LBB6_19
; %bb.17:
	s_cbranch_execnz .LBB6_672
; %bb.18:
	ds_load_b32 v34, v0
.LBB6_19:
	s_or_b32 exec_lo, exec_lo, s0
	v_and_b32_e32 v2, 24, v38
	s_mov_b32 s2, exec_lo
	s_delay_alu instid0(VALU_DEP_1)
	v_cmpx_ne_u32_e32 0, v2
	s_cbranch_execz .LBB6_22
; %bb.20:
	s_cbranch_execnz .LBB6_674
; %bb.21:
	s_waitcnt lgkmcnt(0)
	ds_load_b32 v34, v0
.LBB6_22:
	s_or_b32 exec_lo, exec_lo, s2
	s_waitcnt vmcnt(4)
	v_lshrrev_b64 v[2:3], 31, v[27:28]
	v_mov_b32_e32 v14, 0
	v_mov_b32_e32 v15, 0
                                        ; implicit-def: $vgpr48
                                        ; implicit-def: $vgpr20_vgpr21
                                        ; implicit-def: $vgpr18_vgpr19
                                        ; implicit-def: $vgpr16_vgpr17
	s_delay_alu instid0(VALU_DEP_3) | instskip(NEXT) | instid1(VALU_DEP_2)
	v_and_b32_e32 v28, 3, v2
	v_dual_mov_b32 v6, v14 :: v_dual_mov_b32 v7, v15
                                        ; implicit-def: $vgpr2_vgpr3
	s_and_saveexec_b32 s0, vcc_lo
	s_cbranch_execz .LBB6_35
; %bb.23:
	s_cbranch_execnz .LBB6_676
; %bb.24:
	ds_load_b64 v[2:3], v0
	s_waitcnt lgkmcnt(1)
	v_ashrrev_i32_e32 v35, 31, v34
	v_and_b32_e32 v8, 0xffff, v28
	s_delay_alu instid0(VALU_DEP_2) | instskip(SKIP_1) | instid1(VALU_DEP_1)
	v_lshlrev_b64 v[6:7], 3, v[34:35]
	s_waitcnt lgkmcnt(0)
	v_add_co_u32 v2, vcc_lo, v2, v6
	s_delay_alu instid0(VALU_DEP_2)
	v_add_co_ci_u32_e32 v3, vcc_lo, v3, v7, vcc_lo
	flat_load_b64 v[2:3], v[2:3]
	s_waitcnt vmcnt(0) lgkmcnt(0)
	v_mad_u64_u32 v[6:7], null, 0xa8, v8, v[2:3]
	flat_load_b32 v2, v[6:7] offset:640
	v_add_co_u32 v14, vcc_lo, 0x1f8, v6
	v_add_co_ci_u32_e32 v15, vcc_lo, 0, v7, vcc_lo
	s_waitcnt vmcnt(0) lgkmcnt(0)
	v_cmp_eq_u32_e32 vcc_lo, 1, v2
                                        ; implicit-def: $vgpr2_vgpr3
	s_and_saveexec_b32 s2, vcc_lo
	s_cbranch_execz .LBB6_27
; %bb.25:
	flat_load_b64 v[2:3], v[14:15] offset:144
	s_waitcnt vmcnt(0) lgkmcnt(0)
	flat_load_b64 v[6:7], v[2:3]
	s_cbranch_execnz .LBB6_682
; %bb.26:
	s_waitcnt vmcnt(0) lgkmcnt(0)
	ds_store_b64 v0, v[6:7]
	flat_load_b64 v[6:7], v[2:3] offset:8
	v_or_b32_e32 v38, 0x2000, v38
	s_waitcnt vmcnt(0) lgkmcnt(0)
	ds_store_b64 v0, v[6:7]
	flat_load_b64 v[6:7], v[2:3] offset:16
	s_waitcnt vmcnt(0) lgkmcnt(0)
	ds_store_b64 v0, v[6:7]
.LBB6_27:
	s_or_b32 exec_lo, exec_lo, s2
	flat_load_b64 v[8:9], v[14:15] offset:104
	v_and_b32_e32 v6, 32, v38
	s_mov_b32 s2, exec_lo
                                        ; implicit-def: $vgpr16_vgpr17
	s_delay_alu instid0(VALU_DEP_1)
	v_cmpx_ne_u32_e32 0, v6
	s_cbranch_execz .LBB6_29
; %bb.28:
	flat_load_b64 v[16:17], v[14:15] offset:56
	s_waitcnt vmcnt(0) lgkmcnt(0)
	s_waitcnt_vscnt null, 0x0
	flat_store_b64 v[16:17], v[8:9]
.LBB6_29:
	s_or_b32 exec_lo, exec_lo, s2
	v_and_b32_e32 v18, 4, v38
	v_mov_b32_e32 v6, 0
	v_mov_b32_e32 v7, 0
                                        ; implicit-def: $vgpr48
                                        ; implicit-def: $vgpr20_vgpr21
	s_delay_alu instid0(VALU_DEP_3)
	v_cmp_ne_u32_e32 vcc_lo, 0, v18
                                        ; implicit-def: $vgpr18_vgpr19
	s_and_saveexec_b32 s2, vcc_lo
	s_cbranch_execz .LBB6_34
; %bb.30:
	v_and_b32_e32 v6, 0x800, v38
	s_mov_b32 s3, exec_lo
	s_delay_alu instid0(VALU_DEP_1)
	v_cmpx_eq_u32_e32 0, v6
	s_cbranch_execz .LBB6_33
; %bb.31:
	s_cbranch_execnz .LBB6_686
; %bb.32:
	ds_store_b64 v0, v[14:15]
.LBB6_33:
	s_or_b32 exec_lo, exec_lo, s3
	flat_load_b64 v[16:17], v[14:15] offset:48
	v_or_b32_e32 v23, 0x100, v38
	s_waitcnt vmcnt(0) lgkmcnt(0)
	flat_load_b64 v[20:21], v[16:17] glc
	s_clause 0x2
	flat_load_b32 v22, v[14:15] offset:72
	flat_load_b64 v[6:7], v[14:15] offset:96
	flat_load_b64 v[18:19], v[14:15] offset:16
	s_waitcnt vmcnt(2) lgkmcnt(2)
	v_ashrrev_i32_e32 v48, 2, v22
	s_waitcnt vmcnt(1) lgkmcnt(1)
	v_cmp_eq_u64_e32 vcc_lo, 0, v[6:7]
	v_cndmask_b32_e32 v38, v23, v38, vcc_lo
.LBB6_34:
	s_or_b32 exec_lo, exec_lo, s2
.LBB6_35:
	s_delay_alu instid0(SALU_CYCLE_1) | instskip(NEXT) | instid1(VALU_DEP_1)
	s_or_b32 exec_lo, exec_lo, s0
	v_and_b32_e32 v22, 24, v38
	s_delay_alu instid0(VALU_DEP_1)
	v_cmp_ne_u32_e32 vcc_lo, 0, v22
                                        ; implicit-def: $vgpr22_vgpr23
	s_and_saveexec_b32 s0, vcc_lo
	s_cbranch_execz .LBB6_45
; %bb.36:
	s_cbranch_execnz .LBB6_678
; %bb.37:
	ds_load_b64 v[6:7], v0
	s_waitcnt lgkmcnt(1)
	v_ashrrev_i32_e32 v35, 31, v34
	v_or_b32_e32 v22, 0x100, v38
	s_waitcnt vmcnt(0)
	s_delay_alu instid0(VALU_DEP_2) | instskip(SKIP_1) | instid1(VALU_DEP_1)
	v_lshlrev_b64 v[8:9], 3, v[34:35]
	s_waitcnt lgkmcnt(0)
	v_add_co_u32 v6, vcc_lo, v6, v8
	s_delay_alu instid0(VALU_DEP_2)
	v_add_co_ci_u32_e32 v7, vcc_lo, v7, v9, vcc_lo
	v_and_b32_e32 v8, 0xffff, v28
	flat_load_b64 v[6:7], v[6:7]
	s_waitcnt vmcnt(0) lgkmcnt(0)
	v_mad_u64_u32 v[14:15], null, 0xa8, v8, v[6:7]
	flat_load_b128 v[6:9], v[14:15] offset:96
	s_waitcnt vmcnt(0) lgkmcnt(0)
	v_cmp_eq_u64_e32 vcc_lo, 0, v[6:7]
	v_cndmask_b32_e32 v38, v22, v38, vcc_lo
	s_delay_alu instid0(VALU_DEP_1) | instskip(NEXT) | instid1(VALU_DEP_1)
	v_and_b32_e32 v22, 16, v38
	v_cmp_ne_u32_e32 vcc_lo, 0, v22
                                        ; implicit-def: $vgpr22_vgpr23
	s_and_saveexec_b32 s2, vcc_lo
; %bb.38:
	s_clause 0x2
	flat_load_b64 v[22:23], v[14:15] offset:120
	flat_load_b64 v[16:17], v[14:15] offset:48
	flat_load_b64 v[18:19], v[14:15] offset:16
; %bb.39:
	s_or_b32 exec_lo, exec_lo, s2
	v_and_b32_e32 v28, 8, v38
	s_mov_b32 s2, exec_lo
	s_delay_alu instid0(VALU_DEP_1)
	v_cmpx_ne_u32_e32 0, v28
	s_cbranch_execz .LBB6_44
; %bb.40:
	s_waitcnt vmcnt(1) lgkmcnt(1)
	v_and_b32_e32 v16, 0x800, v38
	s_mov_b32 s3, exec_lo
	s_delay_alu instid0(VALU_DEP_1)
	v_cmpx_eq_u32_e32 0, v16
	s_cbranch_execz .LBB6_43
; %bb.41:
	s_cbranch_execnz .LBB6_703
; %bb.42:
	ds_store_b64 v0, v[14:15]
.LBB6_43:
	s_or_b32 exec_lo, exec_lo, s3
	flat_load_b64 v[16:17], v[14:15] offset:56
	s_waitcnt vmcnt(0) lgkmcnt(0)
	flat_load_b64 v[20:21], v[16:17] glc
	s_clause 0x1
	flat_load_b32 v28, v[14:15] offset:72
	flat_load_b64 v[18:19], v[14:15] offset:16
	s_waitcnt vmcnt(1) lgkmcnt(1)
	v_ashrrev_i32_e32 v48, 2, v28
.LBB6_44:
	s_or_b32 exec_lo, exec_lo, s2
.LBB6_45:
	s_delay_alu instid0(SALU_CYCLE_1) | instskip(SKIP_1) | instid1(VALU_DEP_1)
	s_or_b32 exec_lo, exec_lo, s0
	v_cmp_eq_u32_e64 s0, 0, v0
	s_and_saveexec_b32 s2, s0
	s_cbranch_execz .LBB6_48
; %bb.46:
	s_waitcnt vmcnt(2)
	ds_store_2addr_b64 v0, v[12:13], v[10:11] offset1:1
	s_cbranch_execnz .LBB6_680
; %bb.47:
	v_mov_b32_e32 v10, 0
	s_delay_alu instid0(VALU_DEP_1)
	v_mov_b32_e32 v11, v10
	ds_store_b64 v0, v[10:11]
	s_waitcnt vmcnt(1)
	ds_store_b64 v0, v[32:33]
.LBB6_48:
	s_or_b32 exec_lo, exec_lo, s2
	s_ashr_i32 s2, s1, 31
	s_waitcnt vmcnt(2)
	v_dual_mov_b32 v13, 0 :: v_dual_and_b32 v12, 0xfffff80, v29
	s_lshr_b32 s2, s2, 29
	v_bfe_u32 v27, v27, 1, 30
	s_waitcnt vmcnt(0)
	v_and_b32_e32 v39, 0xffff, v37
	s_add_i32 s1, s1, s2
                                        ; implicit-def: $vgpr10_vgpr11
	s_delay_alu instid0(SALU_CYCLE_1)
	s_ashr_i32 s14, s1, 5
	s_mov_b32 s1, exec_lo
	v_cmpx_ne_u32_e64 v36, v27
	s_xor_b32 s15, exec_lo, s1
	s_cbranch_execz .LBB6_454
; %bb.49:
	v_cmp_ne_u64_e64 s1, 0, v[4:5]
                                        ; implicit-def: $vgpr10_vgpr11
	s_mov_b32 s2, exec_lo
	v_cmpx_ne_u32_e64 v26, v27
	s_xor_b32 s16, exec_lo, s2
	s_cbranch_execz .LBB6_258
; %bb.50:
	v_mov_b32_e32 v10, 0
	v_mov_b32_e32 v11, 0
	s_and_saveexec_b32 s17, s1
	s_cbranch_execz .LBB6_257
; %bb.51:
	v_cmp_ge_i32_e64 s2, v0, v1
	s_cbranch_execnz .LBB6_701
; %bb.52:
	v_ashrrev_i32_e32 v10, 31, v0
	v_lshrrev_b32_e32 v50, 5, v1
	v_dual_mov_b32 v26, 0 :: v_dual_and_b32 v11, 31, v31
	s_lshr_b32 s5, s14, 27
	s_delay_alu instid0(VALU_DEP_3) | instskip(NEXT) | instid1(VALU_DEP_3)
	v_lshrrev_b32_e32 v10, 27, v10
	v_dual_mov_b32 v81, 1 :: v_dual_lshlrev_b32 v52, 9, v50
	s_add_i32 s11, s14, s5
	v_cmp_eq_u32_e64 s5, 0, v11
	s_delay_alu instid0(VALU_DEP_3) | instskip(NEXT) | instid1(VALU_DEP_3)
	v_add_nc_u32_e32 v10, v0, v10
	v_add_nc_u32_e32 v29, 0xfffffe00, v52
	v_lshl_add_u32 v11, v50, 10, 0xfffffc00
	v_cmp_eq_u32_e32 vcc_lo, 32, v1
	v_ashrrev_i32_e32 v49, 31, v48
	v_and_b32_e32 v27, 0xffffffe0, v10
	v_ashrrev_i32_e32 v51, 5, v10
	v_lshl_add_u32 v10, v50, 11, 0xfffff800
	v_cmp_ne_u32_e64 s3, 32, v1
	v_cmp_ne_u32_e64 s4, v39, v1
	v_sub_nc_u32_e32 v53, v0, v27
	v_lshlrev_b32_e32 v27, 11, v51
	v_ashrrev_i32_e32 v28, 31, v10
	v_add_co_u32 v55, s6, 0x800, v10
	s_delay_alu instid0(VALU_DEP_4) | instskip(NEXT) | instid1(VALU_DEP_4)
	v_cmp_lt_i32_e64 s7, v53, v30
	v_lshl_add_u32 v54, v53, 4, v27
	s_delay_alu instid0(VALU_DEP_4)
	v_add_co_ci_u32_e64 v64, s6, 0, v28, s6
	v_mov_b32_e32 v27, 0
	v_mov_b32_e32 v28, 0
	v_ashrrev_i32_e32 v10, 31, v29
	v_lshlrev_b32_e32 v66, 7, v50
	v_add_co_u32 v67, s10, 0x200, v29
	v_cmp_le_i32_e64 s6, v53, v30
	s_delay_alu instid0(VALU_DEP_4) | instskip(SKIP_4) | instid1(VALU_DEP_4)
	v_add_co_ci_u32_e64 v68, s10, 0, v10, s10
	v_ashrrev_i32_e32 v10, 31, v11
	v_add_nc_u32_e32 v29, 0xffffff80, v66
	v_add_co_u32 v69, s10, 0x400, v11
	v_ashrrev_i32_e32 v65, 31, v54
	v_add_co_ci_u32_e64 v70, s10, 0, v10, s10
	s_delay_alu instid0(VALU_DEP_4) | instskip(SKIP_3) | instid1(VALU_DEP_3)
	v_ashrrev_i32_e32 v10, 31, v29
	v_add_co_u32 v71, s10, 0x80, v29
	v_lshlrev_b64 v[29:30], 2, v[24:25]
	s_ashr_i32 s19, s11, 5
	v_add_co_ci_u32_e64 v80, s10, 0, v10, s10
	v_mov_b32_e32 v10, v27
	s_waitcnt lgkmcnt(2)
	v_cmp_eq_u64_e64 s10, 0, v[22:23]
	v_mov_b32_e32 v11, v28
	s_mov_b32 s18, 0
	s_xor_b32 s20, vcc_lo, -1
.LBB6_53:                               ; =>This Loop Header: Depth=1
                                        ;     Child Loop BB6_63 Depth 2
                                        ;     Child Loop BB6_95 Depth 2
	;; [unrolled: 1-line block ×10, first 2 shown]
	v_sub_co_u32 v24, vcc_lo, v4, v27
	v_sub_co_ci_u32_e32 v25, vcc_lo, v5, v28, vcc_lo
	s_delay_alu instid0(VALU_DEP_1) | instskip(SKIP_2) | instid1(VALU_DEP_1)
	v_cmp_lt_u64_e32 vcc_lo, v[12:13], v[24:25]
	v_cndmask_b32_e64 v25, v25, 0, vcc_lo
	v_cndmask_b32_e32 v24, v24, v12, vcc_lo
	v_cmp_eq_u64_e32 vcc_lo, 0, v[24:25]
	v_dual_mov_b32 v25, 0 :: v_dual_add_nc_u32 v32, 15, v24
	s_or_b32 s21, s2, vcc_lo
	s_delay_alu instid0(VALU_DEP_1) | instskip(SKIP_1) | instid1(VALU_DEP_1)
	v_and_b32_e32 v32, 0x1ffffff0, v32
	s_xor_b32 s11, s21, -1
	v_max_i32_e32 v82, s19, v32
	s_and_saveexec_b32 s22, s11
	s_cbranch_execz .LBB6_195
; %bb.54:                               ;   in Loop: Header=BB6_53 Depth=1
	s_and_saveexec_b32 s11, s0
	s_cbranch_execz .LBB6_57
; %bb.55:                               ;   in Loop: Header=BB6_53 Depth=1
	s_cbranch_execnz .LBB6_729
; %bb.56:                               ;   in Loop: Header=BB6_53 Depth=1
	ds_load_b64 v[32:33], v0
	s_waitcnt lgkmcnt(1)
	v_lshlrev_b64 v[34:35], 2, v[27:28]
	s_waitcnt lgkmcnt(0)
	v_add_co_u32 v25, vcc_lo, v32, v29
	v_add_co_ci_u32_e32 v33, vcc_lo, v33, v30, vcc_lo
	s_delay_alu instid0(VALU_DEP_2) | instskip(NEXT) | instid1(VALU_DEP_2)
	v_add_co_u32 v32, vcc_lo, v25, v34
	v_add_co_ci_u32_e32 v33, vcc_lo, v33, v35, vcc_lo
	v_mov_b32_e32 v25, v26
	ds_store_b64 v0, v[32:33]
	ds_store_b64 v0, v[25:26]
.LBB6_57:                               ;   in Loop: Header=BB6_53 Depth=1
	s_or_b32 exec_lo, exec_lo, s11
	v_and_b32_e32 v25, 12, v38
	s_mov_b32 s12, -1
	s_mov_b32 s11, exec_lo
	s_delay_alu instid0(VALU_DEP_1)
	v_cmpx_ne_u32_e32 0, v25
	s_cbranch_execz .LBB6_71
; %bb.58:                               ;   in Loop: Header=BB6_53 Depth=1
	v_and_b32_e32 v25, 8, v38
	s_waitcnt lgkmcnt(0)
	s_delay_alu instid0(VALU_DEP_1) | instskip(SKIP_3) | instid1(VALU_DEP_1)
	v_add_co_u32 v34, vcc_lo, v20, v25
	v_add_co_ci_u32_e32 v35, vcc_lo, 0, v21, vcc_lo
	v_add_co_u32 v32, vcc_lo, v8, 1
	v_add_co_ci_u32_e32 v33, vcc_lo, 0, v9, vcc_lo
	v_cmp_lt_u64_e32 vcc_lo, v[34:35], v[32:33]
	v_mov_b32_e32 v34, 1
	s_and_saveexec_b32 s12, vcc_lo
	s_cbranch_execz .LBB6_70
; %bb.59:                               ;   in Loop: Header=BB6_53 Depth=1
	v_mov_b32_e32 v34, 0
	s_mov_b32 s23, 0
                                        ; implicit-def: $sgpr24
	s_branch .LBB6_63
.LBB6_60:                               ;   in Loop: Header=BB6_63 Depth=2
	s_or_b32 exec_lo, exec_lo, s28
	v_mov_b32_e32 v35, 0
	s_or_not1_b32 s27, s27, exec_lo
.LBB6_61:                               ;   in Loop: Header=BB6_63 Depth=2
	s_or_b32 exec_lo, exec_lo, s26
	s_delay_alu instid0(VALU_DEP_1) | instskip(SKIP_2) | instid1(SALU_CYCLE_1)
	v_mov_b32_e32 v34, v35
	s_and_not1_b32 s24, s24, exec_lo
	s_and_b32 s26, s27, exec_lo
	s_or_b32 s24, s24, s26
.LBB6_62:                               ;   in Loop: Header=BB6_63 Depth=2
	s_or_b32 exec_lo, exec_lo, s25
	s_waitcnt vmcnt(0) lgkmcnt(0)
	v_add_co_u32 v35, vcc_lo, v20, v25
	v_add_co_ci_u32_e32 v36, vcc_lo, 0, v21, vcc_lo
	s_xor_b32 s25, s24, -1
	s_delay_alu instid0(VALU_DEP_1) | instskip(SKIP_1) | instid1(SALU_CYCLE_1)
	v_cmp_ge_u64_e32 vcc_lo, v[35:36], v[32:33]
	s_or_b32 s25, s25, vcc_lo
	s_and_b32 s25, exec_lo, s25
	s_delay_alu instid0(SALU_CYCLE_1) | instskip(NEXT) | instid1(SALU_CYCLE_1)
	s_or_b32 s23, s25, s23
	s_and_not1_b32 exec_lo, exec_lo, s23
	s_cbranch_execz .LBB6_69
.LBB6_63:                               ;   Parent Loop BB6_53 Depth=1
                                        ; =>  This Inner Loop Header: Depth=2
	s_sleep 1
	flat_load_b64 v[20:21], v[16:17] glc
	v_and_b32_e32 v35, 64, v38
	s_and_not1_b32 s24, s24, exec_lo
	s_mov_b32 s25, exec_lo
	s_delay_alu instid0(VALU_DEP_1)
	v_cmpx_eq_u32_e32 0, v35
	s_cbranch_execz .LBB6_62
; %bb.64:                               ;   in Loop: Header=BB6_63 Depth=2
	v_add_nc_u32_e32 v35, 1, v34
	s_mov_b32 s27, -1
	s_mov_b32 s26, exec_lo
	v_cmpx_lt_i32_e32 0x270e, v34
	s_cbranch_execz .LBB6_61
; %bb.65:                               ;   in Loop: Header=BB6_63 Depth=2
	s_cbranch_execnz .LBB6_751
; %bb.66:                               ;   in Loop: Header=BB6_63 Depth=2
	ds_load_b64 v[34:35], v0
	s_mov_b32 s28, exec_lo
	s_waitcnt vmcnt(0) lgkmcnt(0)
	s_waitcnt_vscnt null, 0x0
	flat_load_b32 v34, v[34:35] glc
	s_waitcnt vmcnt(0) lgkmcnt(0)
	buffer_gl1_inv
	buffer_gl0_inv
	v_cmpx_ne_u32_e32 0, v34
	s_cbranch_execz .LBB6_60
; %bb.67:                               ;   in Loop: Header=BB6_63 Depth=2
	ds_store_b32 v0, v34
	s_cbranch_execnz .LBB6_784
; %bb.68:                               ;   in Loop: Header=BB6_63 Depth=2
	v_or_b32_e32 v38, 64, v38
	s_xor_b32 s27, exec_lo, -1
	s_branch .LBB6_60
.LBB6_69:                               ;   in Loop: Header=BB6_53 Depth=1
	s_or_b32 exec_lo, exec_lo, s23
	v_and_b32_e32 v34, 12, v38
.LBB6_70:                               ;   in Loop: Header=BB6_53 Depth=1
	s_or_b32 exec_lo, exec_lo, s12
	s_delay_alu instid0(VALU_DEP_1)
	v_cmp_eq_u32_e32 vcc_lo, 0, v34
	;;#ASMSTART
	s_wakeup
	;;#ASMEND
	s_or_not1_b32 s12, vcc_lo, exec_lo
.LBB6_71:                               ;   in Loop: Header=BB6_53 Depth=1
	s_or_b32 exec_lo, exec_lo, s11
	v_min_u32_e32 v82, v82, v24
	s_xor_b32 s11, s12, -1
	s_delay_alu instid0(SALU_CYCLE_1)
	s_and_saveexec_b32 s12, s11
	s_cbranch_execz .LBB6_86
; %bb.72:                               ;   in Loop: Header=BB6_53 Depth=1
	v_and_b32_e32 v25, 0x108, v38
	s_mov_b32 s11, exec_lo
	s_delay_alu instid0(VALU_DEP_1)
	v_cmpx_ne_u32_e32 0x108, v25
	s_xor_b32 s11, exec_lo, s11
                                        ; implicit-def: $vgpr32_vgpr33
	s_cbranch_execz .LBB6_74
; %bb.73:                               ;   in Loop: Header=BB6_53 Depth=1
	s_waitcnt lgkmcnt(0)
	v_and_b32_e32 v32, 7, v8
.LBB6_74:                               ;   in Loop: Header=BB6_53 Depth=1
	s_and_not1_saveexec_b32 s11, s11
	s_cbranch_execz .LBB6_76
; %bb.75:                               ;   in Loop: Header=BB6_53 Depth=1
	s_waitcnt lgkmcnt(0)
	v_and_b32_e32 v32, 7, v8
	v_dual_mov_b32 v36, v26 :: v_dual_lshlrev_b32 v35, 2, v82
	s_delay_alu instid0(VALU_DEP_2)
	v_mad_u64_u32 v[33:34], null, v32, 24, v[6:7]
	flat_store_b64 v[33:34], v[35:36] offset:8
.LBB6_76:                               ;   in Loop: Header=BB6_53 Depth=1
	s_or_b32 exec_lo, exec_lo, s11
	v_and_b32_e32 v25, 0x100, v38
	s_mov_b32 s11, -1
	s_mov_b32 s23, exec_lo
                                        ; implicit-def: $vgpr33_vgpr34
	s_delay_alu instid0(VALU_DEP_1)
	v_cmpx_ne_u32_e32 0, v25
	s_cbranch_execnz .LBB6_79
; %bb.77:                               ;   in Loop: Header=BB6_53 Depth=1
	s_or_b32 exec_lo, exec_lo, s23
	s_and_saveexec_b32 s23, s11
	s_cbranch_execnz .LBB6_82
.LBB6_78:                               ;   in Loop: Header=BB6_53 Depth=1
	s_or_b32 exec_lo, exec_lo, s23
	s_cbranch_execnz .LBB6_745
	s_branch .LBB6_83
.LBB6_79:                               ;   in Loop: Header=BB6_53 Depth=1
	v_mad_u64_u32 v[35:36], null, v32, 24, v[6:7]
	s_mov_b32 s24, exec_lo
	s_delay_alu instid0(VALU_DEP_1) | instskip(SKIP_1) | instid1(VALU_DEP_1)
	v_mov_b32_e32 v25, v36
	s_waitcnt lgkmcnt(0)
	v_mad_u64_u32 v[33:34], null, v26, 24, v[25:26]
	s_delay_alu instid0(VALU_DEP_1)
	v_mov_b32_e32 v36, v33
                                        ; implicit-def: $vgpr33_vgpr34
	flat_load_b32 v25, v[35:36]
	s_waitcnt vmcnt(0) lgkmcnt(0)
	v_cmp_ne_u32_e32 vcc_lo, 1, v25
	v_cmpx_eq_u32_e32 1, v25
	s_cbranch_execz .LBB6_81
; %bb.80:                               ;   in Loop: Header=BB6_53 Depth=1
	flat_load_b32 v33, v[35:36] offset:4 glc
	s_waitcnt vmcnt(0) lgkmcnt(0)
	v_ashrrev_i32_e32 v34, 31, v33
	s_delay_alu instid0(VALU_DEP_1)
	v_lshrrev_b64 v[33:34], 2, v[33:34]
.LBB6_81:                               ;   in Loop: Header=BB6_53 Depth=1
	s_or_b32 exec_lo, exec_lo, s24
	s_delay_alu instid0(SALU_CYCLE_1)
	s_or_not1_b32 s11, vcc_lo, exec_lo
	s_or_b32 exec_lo, exec_lo, s23
	s_and_saveexec_b32 s23, s11
	s_cbranch_execz .LBB6_78
.LBB6_82:                               ;   in Loop: Header=BB6_53 Depth=1
	v_mul_lo_u32 v25, v26, v48
	v_mul_lo_u32 v35, v32, v49
	s_waitcnt lgkmcnt(0)
	v_mad_u64_u32 v[33:34], null, v32, v48, 0
	s_delay_alu instid0(VALU_DEP_1)
	v_add3_u32 v34, v34, v35, v25
	s_or_b32 exec_lo, exec_lo, s23
	s_cbranch_execnz .LBB6_745
.LBB6_83:                               ;   in Loop: Header=BB6_53 Depth=1
	s_waitcnt lgkmcnt(0)
	s_delay_alu instid0(VALU_DEP_1) | instskip(SKIP_2) | instid1(VALU_DEP_2)
	v_lshlrev_b64 v[32:33], 2, v[33:34]
	v_and_b32_e32 v25, 0x2000, v38
	s_mov_b32 s11, exec_lo
	v_add_co_u32 v32, vcc_lo, v18, v32
	s_delay_alu instid0(VALU_DEP_3)
	v_add_co_ci_u32_e32 v33, vcc_lo, v19, v33, vcc_lo
	ds_store_b64 v0, v[32:33]
	v_cmpx_ne_u32_e32 0, v25
	s_cbranch_execz .LBB6_85
; %bb.84:                               ;   in Loop: Header=BB6_53 Depth=1
	ds_load_b64 v[32:33], v0 offset:584
	s_waitcnt lgkmcnt(0)
	v_add_co_u32 v32, vcc_lo, v32, 1
	v_add_co_ci_u32_e32 v33, vcc_lo, 0, v33, vcc_lo
	ds_store_b64 v0, v[32:33] offset:584
.LBB6_85:                               ;   in Loop: Header=BB6_53 Depth=1
	s_or_b32 exec_lo, exec_lo, s11
	v_add_co_u32 v8, vcc_lo, v8, 1
	v_add_co_ci_u32_e32 v9, vcc_lo, 0, v9, vcc_lo
.LBB6_86:                               ;   in Loop: Header=BB6_53 Depth=1
	s_or_b32 exec_lo, exec_lo, s12
	s_and_saveexec_b32 s11, s3
	s_cbranch_execz .LBB6_108
; %bb.87:                               ;   in Loop: Header=BB6_53 Depth=1
	s_and_saveexec_b32 s12, s4
	s_delay_alu instid0(SALU_CYCLE_1)
	s_xor_b32 s12, exec_lo, s12
	s_cbranch_execz .LBB6_105
; %bb.88:                               ;   in Loop: Header=BB6_53 Depth=1
	s_and_saveexec_b32 s23, s5
	s_cbranch_execz .LBB6_104
; %bb.89:                               ;   in Loop: Header=BB6_53 Depth=1
	s_mov_b32 s25, exec_lo
	s_mov_b32 s24, exec_lo
	v_mbcnt_lo_u32_b32 v25, s25, 0
	s_waitcnt lgkmcnt(0)
	s_waitcnt_vscnt null, 0x0
	buffer_gl1_inv
	buffer_gl0_inv
	v_cmpx_eq_u32_e32 0, v25
	s_cbranch_execz .LBB6_91
; %bb.90:                               ;   in Loop: Header=BB6_53 Depth=1
	s_bcnt1_i32_b32 s25, s25
	s_delay_alu instid0(SALU_CYCLE_1)
	v_mov_b32_e32 v25, s25
	ds_add_u64 v0, v[25:26]
	s_cbranch_execnz .LBB6_810
.LBB6_91:                               ;   in Loop: Header=BB6_53 Depth=1
	s_or_b32 exec_lo, exec_lo, s24
	s_cbranch_execnz .LBB6_798
; %bb.92:                               ;   in Loop: Header=BB6_53 Depth=1
	ds_load_b64 v[32:33], v0
	v_add_co_u32 v10, vcc_lo, v10, v50
	v_add_co_ci_u32_e32 v11, vcc_lo, 0, v11, vcc_lo
	s_mov_b32 s24, exec_lo
	s_waitcnt lgkmcnt(0)
	s_delay_alu instid0(VALU_DEP_1)
	v_cmpx_lt_u64_e64 v[32:33], v[10:11]
	s_cbranch_execz .LBB6_103
; %bb.93:                               ;   in Loop: Header=BB6_53 Depth=1
	s_mov_b32 s25, 0
	s_mov_b32 s28, 0
                                        ; implicit-def: $sgpr26
                                        ; implicit-def: $sgpr27
	s_branch .LBB6_95
.LBB6_94:                               ;   in Loop: Header=BB6_95 Depth=2
	s_or_b32 exec_lo, exec_lo, vcc_hi
	s_delay_alu instid0(SALU_CYCLE_1) | instskip(NEXT) | instid1(SALU_CYCLE_1)
	s_and_b32 s29, exec_lo, vcc_lo
	s_or_b32 s25, s29, s25
	s_and_not1_b32 s26, s26, exec_lo
	s_and_b32 s29, s27, exec_lo
	s_delay_alu instid0(SALU_CYCLE_1)
	s_or_b32 s26, s26, s29
	s_and_not1_b32 exec_lo, exec_lo, s25
	s_cbranch_execz .LBB6_101
.LBB6_95:                               ;   Parent Loop BB6_53 Depth=1
                                        ; =>  This Inner Loop Header: Depth=2
	s_add_i32 s28, s28, 1
                                        ; implicit-def: $vcc_hi
	s_delay_alu instid0(SALU_CYCLE_1) | instskip(SKIP_1) | instid1(SALU_CYCLE_1)
	s_cmpk_lg_i32 s28, 0x2710
	s_cselect_b32 s29, -1, 0
	s_and_b32 vcc_lo, exec_lo, s29
	s_cbranch_vccz .LBB6_99
.LBB6_96:                               ;   in Loop: Header=BB6_95 Depth=2
	s_and_not1_b32 s27, s27, exec_lo
	s_and_b32 vcc_hi, vcc_hi, exec_lo
	s_mov_b32 vcc_lo, -1
	s_or_b32 s27, s27, vcc_hi
	s_and_saveexec_b32 vcc_hi, s29
	s_cbranch_execz .LBB6_94
; %bb.97:                               ;   in Loop: Header=BB6_95 Depth=2
	s_sleep 1
	s_cbranch_execnz .LBB6_842
; %bb.98:                               ;   in Loop: Header=BB6_95 Depth=2
	ds_load_b64 v[32:33], v0
	s_and_not1_b32 s27, s27, exec_lo
	s_waitcnt lgkmcnt(0)
	v_cmp_ge_u64_e32 vcc_lo, v[32:33], v[10:11]
	s_or_not1_b32 vcc_lo, vcc_lo, exec_lo
	s_branch .LBB6_94
.LBB6_99:                               ;   in Loop: Header=BB6_95 Depth=2
	s_cbranch_execnz .LBB6_856
; %bb.100:                              ;   in Loop: Header=BB6_95 Depth=2
	ds_load_b64 v[32:33], v0
	s_and_not1_b32 s29, s29, exec_lo
	s_mov_b32 s28, 0
	s_waitcnt lgkmcnt(0)
	flat_load_b32 v25, v[32:33] glc
	s_waitcnt vmcnt(0) lgkmcnt(0)
	buffer_gl1_inv
	buffer_gl0_inv
	v_cmp_eq_u32_e32 vcc_lo, 0, v25
	s_mov_b32 vcc_hi, -1
	s_and_b32 vcc_lo, vcc_lo, exec_lo
	s_delay_alu instid0(SALU_CYCLE_1)
	s_or_b32 s29, s29, vcc_lo
	s_branch .LBB6_96
.LBB6_101:                              ;   in Loop: Header=BB6_53 Depth=1
	s_or_b32 exec_lo, exec_lo, s25
	s_and_saveexec_b32 s25, s26
	s_delay_alu instid0(SALU_CYCLE_1)
	s_xor_b32 s25, exec_lo, s25
	s_cbranch_execz .LBB6_103
; %bb.102:                              ;   in Loop: Header=BB6_53 Depth=1
	ds_store_b32 v0, v81
	s_cbranch_execnz .LBB6_928
.LBB6_103:                              ;   in Loop: Header=BB6_53 Depth=1
	s_or_b32 exec_lo, exec_lo, s24
	;;#ASMSTART
	s_wakeup
	;;#ASMEND
.LBB6_104:                              ;   in Loop: Header=BB6_53 Depth=1
	s_or_b32 exec_lo, exec_lo, s23
.LBB6_105:                              ;   in Loop: Header=BB6_53 Depth=1
	s_and_not1_saveexec_b32 s12, s12
	s_cbranch_execz .LBB6_107
; %bb.106:                              ;   in Loop: Header=BB6_53 Depth=1
	s_waitcnt lgkmcnt(0)
	s_waitcnt_vscnt null, 0x0
	buffer_gl1_inv
	buffer_gl0_inv
	s_barrier
.LBB6_107:                              ;   in Loop: Header=BB6_53 Depth=1
	s_or_b32 exec_lo, exec_lo, s12
.LBB6_108:                              ;   in Loop: Header=BB6_53 Depth=1
	s_delay_alu instid0(SALU_CYCLE_1)
	s_or_b32 exec_lo, exec_lo, s11
	s_cbranch_execnz .LBB6_735
; %bb.109:                              ;   in Loop: Header=BB6_53 Depth=1
	ds_load_b32 v32, v0
	v_and_b32_e32 v25, 0x4000, v38
	s_delay_alu instid0(VALU_DEP_1) | instskip(SKIP_1) | instid1(SALU_CYCLE_1)
	v_cmp_ne_u32_e32 vcc_lo, 0, v25
	s_and_b32 s12, s20, vcc_lo
	s_and_saveexec_b32 s11, s12
	s_cbranch_execz .LBB6_131
; %bb.110:                              ;   in Loop: Header=BB6_53 Depth=1
	s_and_saveexec_b32 s12, s4
	s_delay_alu instid0(SALU_CYCLE_1)
	s_xor_b32 s12, exec_lo, s12
	s_cbranch_execz .LBB6_128
; %bb.111:                              ;   in Loop: Header=BB6_53 Depth=1
	s_and_saveexec_b32 s23, s5
	s_cbranch_execz .LBB6_127
; %bb.112:                              ;   in Loop: Header=BB6_53 Depth=1
	s_mov_b32 s25, exec_lo
	s_mov_b32 s24, exec_lo
	v_mbcnt_lo_u32_b32 v25, s25, 0
	s_waitcnt lgkmcnt(0)
	s_waitcnt_vscnt null, 0x0
	buffer_gl1_inv
	buffer_gl0_inv
	v_cmpx_eq_u32_e32 0, v25
	s_cbranch_execz .LBB6_114
; %bb.113:                              ;   in Loop: Header=BB6_53 Depth=1
	s_bcnt1_i32_b32 s25, s25
	s_delay_alu instid0(SALU_CYCLE_1)
	v_mov_b32_e32 v25, s25
	ds_add_u64 v0, v[25:26]
	s_cbranch_execnz .LBB6_838
.LBB6_114:                              ;   in Loop: Header=BB6_53 Depth=1
	s_or_b32 exec_lo, exec_lo, s24
	s_cbranch_execnz .LBB6_826
; %bb.115:                              ;   in Loop: Header=BB6_53 Depth=1
	ds_load_b64 v[33:34], v0
	v_add_co_u32 v10, vcc_lo, v10, v50
	v_add_co_ci_u32_e32 v11, vcc_lo, 0, v11, vcc_lo
	s_mov_b32 s24, exec_lo
	s_waitcnt lgkmcnt(0)
	s_delay_alu instid0(VALU_DEP_1)
	v_cmpx_lt_u64_e64 v[33:34], v[10:11]
	s_cbranch_execz .LBB6_126
; %bb.116:                              ;   in Loop: Header=BB6_53 Depth=1
	s_mov_b32 s25, 0
	s_mov_b32 s28, 0
                                        ; implicit-def: $sgpr26
                                        ; implicit-def: $sgpr27
	s_branch .LBB6_118
.LBB6_117:                              ;   in Loop: Header=BB6_118 Depth=2
	s_or_b32 exec_lo, exec_lo, vcc_hi
	s_delay_alu instid0(SALU_CYCLE_1) | instskip(NEXT) | instid1(SALU_CYCLE_1)
	s_and_b32 s29, exec_lo, vcc_lo
	s_or_b32 s25, s29, s25
	s_and_not1_b32 s26, s26, exec_lo
	s_and_b32 s29, s27, exec_lo
	s_delay_alu instid0(SALU_CYCLE_1)
	s_or_b32 s26, s26, s29
	s_and_not1_b32 exec_lo, exec_lo, s25
	s_cbranch_execz .LBB6_124
.LBB6_118:                              ;   Parent Loop BB6_53 Depth=1
                                        ; =>  This Inner Loop Header: Depth=2
	s_add_i32 s28, s28, 1
                                        ; implicit-def: $vcc_hi
	s_delay_alu instid0(SALU_CYCLE_1) | instskip(SKIP_1) | instid1(SALU_CYCLE_1)
	s_cmpk_lg_i32 s28, 0x2710
	s_cselect_b32 s29, -1, 0
	s_and_b32 vcc_lo, exec_lo, s29
	s_cbranch_vccz .LBB6_122
.LBB6_119:                              ;   in Loop: Header=BB6_118 Depth=2
	s_and_not1_b32 s27, s27, exec_lo
	s_and_b32 vcc_hi, vcc_hi, exec_lo
	s_mov_b32 vcc_lo, -1
	s_or_b32 s27, s27, vcc_hi
	s_and_saveexec_b32 vcc_hi, s29
	s_cbranch_execz .LBB6_117
; %bb.120:                              ;   in Loop: Header=BB6_118 Depth=2
	s_sleep 1
	s_cbranch_execnz .LBB6_892
; %bb.121:                              ;   in Loop: Header=BB6_118 Depth=2
	ds_load_b64 v[33:34], v0
	s_and_not1_b32 s27, s27, exec_lo
	s_waitcnt lgkmcnt(0)
	v_cmp_ge_u64_e32 vcc_lo, v[33:34], v[10:11]
	s_or_not1_b32 vcc_lo, vcc_lo, exec_lo
	s_branch .LBB6_117
.LBB6_122:                              ;   in Loop: Header=BB6_118 Depth=2
	s_cbranch_execnz .LBB6_900
; %bb.123:                              ;   in Loop: Header=BB6_118 Depth=2
	ds_load_b64 v[33:34], v0
	s_and_not1_b32 s29, s29, exec_lo
	s_mov_b32 s28, 0
	s_waitcnt lgkmcnt(0)
	flat_load_b32 v25, v[33:34] glc
	s_waitcnt vmcnt(0) lgkmcnt(0)
	buffer_gl1_inv
	buffer_gl0_inv
	v_cmp_eq_u32_e32 vcc_lo, 0, v25
	s_mov_b32 vcc_hi, -1
	s_and_b32 vcc_lo, vcc_lo, exec_lo
	s_delay_alu instid0(SALU_CYCLE_1)
	s_or_b32 s29, s29, vcc_lo
	s_branch .LBB6_119
.LBB6_124:                              ;   in Loop: Header=BB6_53 Depth=1
	s_or_b32 exec_lo, exec_lo, s25
	s_and_saveexec_b32 s25, s26
	s_delay_alu instid0(SALU_CYCLE_1)
	s_xor_b32 s25, exec_lo, s25
	s_cbranch_execz .LBB6_126
; %bb.125:                              ;   in Loop: Header=BB6_53 Depth=1
	ds_store_b32 v0, v81
	s_cbranch_execnz .LBB6_938
.LBB6_126:                              ;   in Loop: Header=BB6_53 Depth=1
	s_or_b32 exec_lo, exec_lo, s24
	;;#ASMSTART
	s_wakeup
	;;#ASMEND
.LBB6_127:                              ;   in Loop: Header=BB6_53 Depth=1
	s_or_b32 exec_lo, exec_lo, s23
.LBB6_128:                              ;   in Loop: Header=BB6_53 Depth=1
	s_and_not1_saveexec_b32 s12, s12
	s_cbranch_execz .LBB6_130
; %bb.129:                              ;   in Loop: Header=BB6_53 Depth=1
	s_waitcnt lgkmcnt(0)
	s_waitcnt_vscnt null, 0x0
	buffer_gl1_inv
	buffer_gl0_inv
	s_barrier
.LBB6_130:                              ;   in Loop: Header=BB6_53 Depth=1
	s_or_b32 exec_lo, exec_lo, s12
.LBB6_131:                              ;   in Loop: Header=BB6_53 Depth=1
	s_delay_alu instid0(SALU_CYCLE_1)
	s_or_b32 exec_lo, exec_lo, s11
	s_cbranch_execnz .LBB6_770
; %bb.132:                              ;   in Loop: Header=BB6_53 Depth=1
	s_waitcnt lgkmcnt(1)
	ds_load_b64 v[33:34], v0
	s_waitcnt lgkmcnt(0)
	v_cmp_eq_u64_e32 vcc_lo, 0, v[33:34]
	s_or_b32 s11, vcc_lo, vcc_lo
	s_delay_alu instid0(SALU_CYCLE_1)
	s_and_b32 vcc_lo, exec_lo, s11
	s_mov_b32 s11, 0
	s_cbranch_vccnz .LBB6_166
; %bb.133:                              ;   in Loop: Header=BB6_53 Depth=1
	s_mov_b32 s11, -1
	s_and_saveexec_b32 s12, s6
	s_cbranch_execz .LBB6_135
; %bb.134:                              ;   in Loop: Header=BB6_53 Depth=1
	ds_load_b32 v25, v0 offset:720
	s_waitcnt lgkmcnt(0)
	v_and_b32_e32 v25, 15, v25
	s_delay_alu instid0(VALU_DEP_1)
	v_cmp_eq_u32_e32 vcc_lo, 0, v25
	s_or_not1_b32 s11, vcc_lo, exec_lo
.LBB6_135:                              ;   in Loop: Header=BB6_53 Depth=1
	s_or_b32 exec_lo, exec_lo, s12
	s_and_saveexec_b32 s12, s7
	s_cbranch_execz .LBB6_137
; %bb.136:                              ;   in Loop: Header=BB6_53 Depth=1
	ds_load_b32 v25, v0 offset:784
	s_waitcnt lgkmcnt(0)
	v_and_b32_e32 v25, 15, v25
	s_delay_alu instid0(VALU_DEP_1) | instskip(SKIP_3) | instid1(SALU_CYCLE_1)
	v_cmp_eq_u32_e32 vcc_lo, 0, v25
	s_and_b32 s23, s11, vcc_lo
	s_and_not1_b32 s11, s11, exec_lo
	s_and_b32 s23, s23, exec_lo
	s_or_b32 s11, s11, s23
.LBB6_137:                              ;   in Loop: Header=BB6_53 Depth=1
	s_or_b32 exec_lo, exec_lo, s12
	v_cmp_eq_u32_e32 vcc_lo, 0, v32
	s_xor_b32 s11, s11, -1
	v_mov_b32_e32 v84, 0
	v_cndmask_b32_e64 v33, 0, 1, s11
	;;#ASMSTART
	;;#ASMEND
	v_cndmask_b32_e32 v25, 0, v82, vcc_lo
	s_delay_alu instid0(VALU_DEP_2) | instskip(SKIP_1) | instid1(VALU_DEP_2)
	v_cmp_ne_u32_e32 vcc_lo, 0, v33
	s_mov_b32 s11, -1
	v_lshlrev_b32_e32 v83, 2, v25
	s_cbranch_vccz .LBB6_139
; %bb.138:                              ;   in Loop: Header=BB6_53 Depth=1
	v_dual_mov_b32 v85, v0 :: v_dual_mov_b32 v32, v51
	s_branch .LBB6_154
.LBB6_139:                              ;   in Loop: Header=BB6_53 Depth=1
	v_lshrrev_b32_e32 v84, 9, v25
	s_mov_b32 s12, exec_lo
	s_delay_alu instid0(VALU_DEP_1) | instskip(NEXT) | instid1(VALU_DEP_1)
	v_sub_nc_u32_e32 v87, v84, v51
	v_cmpx_lt_i32_e32 0, v87
	s_cbranch_execz .LBB6_144
; %bb.140:                              ;   in Loop: Header=BB6_53 Depth=1
	s_cbranch_execnz .LBB6_860
; %bb.141:                              ;   in Loop: Header=BB6_53 Depth=1
	ds_load_b128 v[32:35], v0
	ds_load_b64 v[36:37], v0
	s_mov_b32 s23, 0
	s_waitcnt lgkmcnt(1)
	v_add_co_u32 v32, vcc_lo, v32, v54
	v_add_co_ci_u32_e32 v33, vcc_lo, v33, v65, vcc_lo
	v_add_co_u32 v34, vcc_lo, v34, v54
	v_add_co_ci_u32_e32 v35, vcc_lo, v35, v65, vcc_lo
	s_waitcnt lgkmcnt(0)
	v_add_co_u32 v36, vcc_lo, v36, v54
	v_add_co_ci_u32_e32 v37, vcc_lo, v37, v65, vcc_lo
.LBB6_142:                              ;   Parent Loop BB6_53 Depth=1
                                        ; =>  This Inner Loop Header: Depth=2
	global_load_b128 v[96:99], v[34:35], off slc dlc
	s_clause 0x1
	global_load_b128 v[100:103], v[32:33], off slc dlc
	global_load_b128 v[112:115], v[32:33], off offset:512 slc dlc
	s_clause 0x1
	global_load_b128 v[116:119], v[34:35], off offset:512 slc dlc
	global_load_b128 v[128:131], v[34:35], off offset:1024 slc dlc
	s_clause 0x1
	global_load_b128 v[132:135], v[32:33], off offset:1024 slc dlc
	global_load_b128 v[144:147], v[32:33], off offset:1536 slc dlc
	;; [unrolled: 1-line block ×3, first 2 shown]
	v_add_co_u32 v32, vcc_lo, v32, v55
	v_sub_nc_u32_e32 v87, v87, v50
	v_add_co_ci_u32_e32 v33, vcc_lo, v33, v64, vcc_lo
	v_add_co_u32 v34, vcc_lo, v34, v55
	v_add_co_ci_u32_e32 v35, vcc_lo, v35, v64, vcc_lo
	s_delay_alu instid0(VALU_DEP_4)
	v_cmp_gt_i32_e32 vcc_lo, 1, v87
	s_or_b32 s23, vcc_lo, s23
	s_waitcnt vmcnt(6)
	v_dual_mul_f32 v96, v100, v96 :: v_dual_mul_f32 v97, v101, v97
	v_dual_mul_f32 v98, v102, v98 :: v_dual_mul_f32 v99, v103, v99
	s_waitcnt vmcnt(4)
	v_dual_mul_f32 v100, v112, v116 :: v_dual_mul_f32 v101, v113, v117
	v_dual_mul_f32 v102, v114, v118 :: v_dual_mul_f32 v103, v115, v119
	;; [unrolled: 3-line block ×4, first 2 shown]
	s_clause 0x3
	global_store_b128 v[36:37], v[96:99], off glc slc dlc
	global_store_b128 v[36:37], v[100:103], off offset:512 glc slc dlc
	global_store_b128 v[36:37], v[112:115], off offset:1024 glc slc dlc
	;; [unrolled: 1-line block ×3, first 2 shown]
	v_add_co_u32 v36, s11, v36, v55
	s_delay_alu instid0(VALU_DEP_1)
	v_add_co_ci_u32_e64 v37, s11, v37, v64, s11
	s_and_not1_b32 exec_lo, exec_lo, s23
	s_cbranch_execnz .LBB6_142
; %bb.143:                              ;   in Loop: Header=BB6_53 Depth=1
	s_or_b32 exec_lo, exec_lo, s23
.LBB6_144:                              ;   in Loop: Header=BB6_53 Depth=1
	s_delay_alu instid0(SALU_CYCLE_1) | instskip(SKIP_4) | instid1(VALU_DEP_2)
	s_or_b32 exec_lo, exec_lo, s12
	v_lshlrev_b32_e32 v86, 11, v84
	v_mov_b32_e32 v84, 0
	s_mov_b32 s11, 0
	s_mov_b32 s23, exec_lo
                                        ; implicit-def: $vgpr85
                                        ; implicit-def: $vgpr32
	v_cmpx_ne_u32_e64 v83, v86
	s_cbranch_execz .LBB6_153
; %bb.145:                              ;   in Loop: Header=BB6_53 Depth=1
	v_lshlrev_b32_e32 v32, 5, v87
	v_sub_nc_u32_e32 v34, v83, v86
	s_mov_b32 s24, exec_lo
	s_delay_alu instid0(VALU_DEP_2) | instskip(NEXT) | instid1(VALU_DEP_2)
	v_sub_nc_u32_e32 v32, v53, v32
	v_ashrrev_i32_e32 v35, 31, v34
	s_delay_alu instid0(VALU_DEP_2) | instskip(NEXT) | instid1(VALU_DEP_2)
	v_ashrrev_i32_e32 v33, 31, v32
	v_lshrrev_b32_e32 v35, 23, v35
	s_delay_alu instid0(VALU_DEP_2) | instskip(NEXT) | instid1(VALU_DEP_2)
	v_lshrrev_b32_e32 v33, 27, v33
	v_add_nc_u32_e32 v35, v34, v35
	s_delay_alu instid0(VALU_DEP_2) | instskip(NEXT) | instid1(VALU_DEP_2)
	v_add_nc_u32_e32 v33, v32, v33
	v_and_b32_e32 v87, 0xfffffe00, v35
	v_ashrrev_i32_e32 v35, 9, v35
	s_delay_alu instid0(VALU_DEP_3) | instskip(NEXT) | instid1(VALU_DEP_3)
	v_and_b32_e32 v36, 0xffffffe0, v33
	v_sub_nc_u32_e32 v97, v34, v87
	v_ashrrev_i32_e32 v33, 5, v33
	s_delay_alu instid0(VALU_DEP_3) | instskip(NEXT) | instid1(VALU_DEP_3)
	v_sub_nc_u32_e32 v96, v32, v36
	v_cmp_lt_i32_e32 vcc_lo, 15, v97
	s_delay_alu instid0(VALU_DEP_2) | instskip(SKIP_1) | instid1(VALU_DEP_2)
	v_lshlrev_b32_e32 v32, 4, v96
	v_add_co_ci_u32_e64 v35, s11, 0, v35, vcc_lo
	v_lshl_add_u32 v32, v33, 9, v32
	s_delay_alu instid0(VALU_DEP_2) | instskip(NEXT) | instid1(VALU_DEP_2)
	v_sub_nc_u32_e32 v98, v35, v33
	v_sub_nc_u32_e32 v84, v34, v32
	s_delay_alu instid0(VALU_DEP_1)
	v_cmpx_lt_i32_e32 15, v84
	s_cbranch_execz .LBB6_150
; %bb.146:                              ;   in Loop: Header=BB6_53 Depth=1
	s_cbranch_execnz .LBB6_910
; %bb.147:                              ;   in Loop: Header=BB6_53 Depth=1
	ds_load_b128 v[33:36], v0
	ds_load_b64 v[99:100], v0
	v_add_nc_u32_e32 v37, v32, v86
	s_mov_b32 s25, 0
	s_delay_alu instid0(VALU_DEP_1) | instskip(SKIP_2) | instid1(VALU_DEP_1)
	v_ashrrev_i32_e32 v85, 31, v37
	s_waitcnt lgkmcnt(1)
	v_add_co_u32 v32, s11, v33, v37
	v_add_co_ci_u32_e64 v33, s11, v34, v85, s11
	v_add_co_u32 v34, s11, v35, v37
	s_delay_alu instid0(VALU_DEP_1) | instskip(SKIP_2) | instid1(VALU_DEP_1)
	v_add_co_ci_u32_e64 v35, s11, v36, v85, s11
	s_waitcnt lgkmcnt(0)
	v_add_co_u32 v36, s11, v99, v37
	v_add_co_ci_u32_e64 v37, s11, v100, v85, s11
.LBB6_148:                              ;   Parent Loop BB6_53 Depth=1
                                        ; =>  This Inner Loop Header: Depth=2
	global_load_b128 v[99:102], v[32:33], off slc dlc
	global_load_b128 v[112:115], v[34:35], off slc dlc
	v_add_co_u32 v32, s11, v32, v67
	v_sub_nc_u32_e32 v84, v84, v52
	v_add_co_ci_u32_e64 v33, s11, v33, v68, s11
	v_add_co_u32 v34, s11, v34, v67
	s_delay_alu instid0(VALU_DEP_1) | instskip(NEXT) | instid1(VALU_DEP_4)
	v_add_co_ci_u32_e64 v35, s11, v35, v68, s11
	v_cmp_gt_i32_e64 s11, 16, v84
	v_sub_nc_u32_e32 v98, v98, v50
	s_delay_alu instid0(VALU_DEP_2)
	s_or_b32 s25, s11, s25
	s_waitcnt vmcnt(0)
	v_dual_mul_f32 v99, v99, v112 :: v_dual_mul_f32 v100, v100, v113
	v_dual_mul_f32 v101, v101, v114 :: v_dual_mul_f32 v102, v102, v115
	global_store_b128 v[36:37], v[99:102], off glc slc dlc
	v_add_co_u32 v36, s12, v36, v67
	s_delay_alu instid0(VALU_DEP_1)
	v_add_co_ci_u32_e64 v37, s12, v37, v68, s12
	s_and_not1_b32 exec_lo, exec_lo, s25
	s_cbranch_execnz .LBB6_148
; %bb.149:                              ;   in Loop: Header=BB6_53 Depth=1
	s_or_b32 exec_lo, exec_lo, s25
.LBB6_150:                              ;   in Loop: Header=BB6_53 Depth=1
	s_delay_alu instid0(SALU_CYCLE_1) | instskip(SKIP_3) | instid1(VALU_DEP_1)
	s_or_b32 exec_lo, exec_lo, s24
	v_dual_mov_b32 v84, 0 :: v_dual_and_b32 v33, 12, v83
	s_mov_b32 s12, 0
	s_mov_b32 s24, exec_lo
                                        ; implicit-def: $vgpr85
                                        ; implicit-def: $vgpr32
	v_cndmask_b32_e32 v83, v97, v33, vcc_lo
	s_delay_alu instid0(VALU_DEP_1)
	v_cmpx_ne_u32_e32 0, v83
; %bb.151:                              ;   in Loop: Header=BB6_53 Depth=1
	v_cmp_lt_i32_e64 s11, 0, v98
	v_sub_nc_u32_e32 v33, v97, v33
	s_mov_b32 s12, exec_lo
	s_delay_alu instid0(VALU_DEP_2) | instskip(NEXT) | instid1(VALU_DEP_1)
	v_cndmask_b32_e64 v32, 0, v50, s11
	v_sub_nc_u32_e32 v32, v32, v98
	s_delay_alu instid0(VALU_DEP_1) | instskip(NEXT) | instid1(VALU_DEP_1)
	v_lshl_add_u32 v85, v32, 5, v96
	v_ashrrev_i32_e32 v32, 31, v85
	s_delay_alu instid0(VALU_DEP_1) | instskip(NEXT) | instid1(VALU_DEP_1)
	v_lshrrev_b32_e32 v32, 27, v32
	v_dual_cndmask_b32 v33, 0, v33 :: v_dual_add_nc_u32 v32, v85, v32
	s_delay_alu instid0(VALU_DEP_1) | instskip(NEXT) | instid1(VALU_DEP_2)
	v_add3_u32 v84, v87, v86, v33
	v_ashrrev_i32_e32 v32, 5, v32
; %bb.152:                              ;   in Loop: Header=BB6_53 Depth=1
	s_or_b32 exec_lo, exec_lo, s24
	s_delay_alu instid0(SALU_CYCLE_1)
	s_and_b32 s11, s12, exec_lo
.LBB6_153:                              ;   in Loop: Header=BB6_53 Depth=1
	s_or_b32 exec_lo, exec_lo, s23
.LBB6_154:                              ;   in Loop: Header=BB6_53 Depth=1
	s_and_saveexec_b32 s12, s11
	s_cbranch_execz .LBB6_165
; %bb.155:                              ;   in Loop: Header=BB6_53 Depth=1
	v_ashrrev_i32_e32 v33, 31, v83
	s_mov_b32 s23, exec_lo
	s_delay_alu instid0(VALU_DEP_1) | instskip(NEXT) | instid1(VALU_DEP_1)
	v_lshrrev_b32_e32 v33, 22, v33
	v_add_nc_u32_e32 v33, v83, v33
	s_delay_alu instid0(VALU_DEP_1) | instskip(NEXT) | instid1(VALU_DEP_1)
	v_ashrrev_i32_e32 v87, 10, v33
	v_sub_nc_u32_e32 v86, v87, v32
	s_delay_alu instid0(VALU_DEP_1)
	v_cmpx_lt_i32_e32 0, v86
	s_cbranch_execz .LBB6_160
; %bb.156:                              ;   in Loop: Header=BB6_53 Depth=1
	s_cbranch_execnz .LBB6_850
; %bb.157:                              ;   in Loop: Header=BB6_53 Depth=1
	v_ashrrev_i32_e32 v33, 31, v85
	ds_load_b64 v[96:97], v0
	v_lshlrev_b32_e32 v32, 10, v32
	s_mov_b32 s24, 0
	v_lshrrev_b32_e32 v33, 27, v33
	s_delay_alu instid0(VALU_DEP_1) | instskip(NEXT) | instid1(VALU_DEP_1)
	v_add_nc_u32_e32 v33, v85, v33
	v_and_b32_e32 v33, 0x3fffffe0, v33
	s_delay_alu instid0(VALU_DEP_1)
	v_sub_nc_u32_e32 v37, v85, v33
	ds_load_b128 v[33:36], v0
	s_waitcnt lgkmcnt(1)
	v_add_co_u32 v96, vcc_lo, 0x380, v96
	v_add_co_ci_u32_e32 v97, vcc_lo, 0, v97, vcc_lo
	v_lshlrev_b32_e32 v37, 2, v37
	s_delay_alu instid0(VALU_DEP_1) | instskip(NEXT) | instid1(VALU_DEP_1)
	v_add3_u32 v37, v37, v84, v32
	v_ashrrev_i32_e32 v98, 31, v37
	s_waitcnt lgkmcnt(0)
	v_add_co_u32 v32, vcc_lo, v33, v37
	s_delay_alu instid0(VALU_DEP_2)
	v_add_co_ci_u32_e32 v33, vcc_lo, v34, v98, vcc_lo
	v_add_co_u32 v34, vcc_lo, v35, v37
	v_add_co_ci_u32_e32 v35, vcc_lo, v36, v98, vcc_lo
	v_add_co_u32 v36, vcc_lo, v96, v37
	v_add_co_ci_u32_e32 v37, vcc_lo, v97, v98, vcc_lo
.LBB6_158:                              ;   Parent Loop BB6_53 Depth=1
                                        ; =>  This Inner Loop Header: Depth=2
	s_clause 0x7
	flat_load_b32 v118, v[32:33] slc dlc
	flat_load_b32 v119, v[32:33] offset:128 slc dlc
	flat_load_b32 v128, v[32:33] offset:256 slc dlc
	;; [unrolled: 1-line block ×7, first 2 shown]
	s_clause 0x7
	flat_load_b32 v134, v[34:35] slc dlc
	flat_load_b32 v135, v[34:35] offset:128 slc dlc
	flat_load_b32 v144, v[34:35] offset:256 slc dlc
	;; [unrolled: 1-line block ×7, first 2 shown]
	v_add_co_u32 v96, vcc_lo, 0xfffffc80, v36
	v_add_co_ci_u32_e32 v97, vcc_lo, -1, v37, vcc_lo
	v_add_co_u32 v98, vcc_lo, 0xfffffd00, v36
	v_add_co_ci_u32_e32 v99, vcc_lo, -1, v37, vcc_lo
	;; [unrolled: 2-line block ×7, first 2 shown]
	v_add_co_u32 v32, vcc_lo, v32, v69
	v_sub_nc_u32_e32 v86, v86, v50
	v_add_co_ci_u32_e32 v33, vcc_lo, v33, v70, vcc_lo
	v_add_co_u32 v34, vcc_lo, v34, v69
	v_add_co_ci_u32_e32 v35, vcc_lo, v35, v70, vcc_lo
	s_delay_alu instid0(VALU_DEP_4)
	v_cmp_gt_i32_e32 vcc_lo, 1, v86
	s_or_b32 s24, vcc_lo, s24
	s_waitcnt vmcnt(6) lgkmcnt(6)
	v_dual_mul_f32 v118, v118, v134 :: v_dual_mul_f32 v119, v119, v135
	s_waitcnt vmcnt(4) lgkmcnt(4)
	v_dual_mul_f32 v128, v128, v144 :: v_dual_mul_f32 v129, v129, v145
	;; [unrolled: 2-line block ×4, first 2 shown]
	flat_store_b32 v[96:97], v118 glc slc dlc
	flat_store_b32 v[98:99], v119 glc slc dlc
	;; [unrolled: 1-line block ×8, first 2 shown]
	v_add_co_u32 v36, s11, v36, v69
	s_delay_alu instid0(VALU_DEP_1)
	v_add_co_ci_u32_e64 v37, s11, v37, v70, s11
	s_and_not1_b32 exec_lo, exec_lo, s24
	s_cbranch_execnz .LBB6_158
; %bb.159:                              ;   in Loop: Header=BB6_53 Depth=1
	s_or_b32 exec_lo, exec_lo, s24
.LBB6_160:                              ;   in Loop: Header=BB6_53 Depth=1
	s_delay_alu instid0(SALU_CYCLE_1) | instskip(SKIP_1) | instid1(VALU_DEP_1)
	s_or_b32 exec_lo, exec_lo, s23
	v_lshlrev_b32_e32 v32, 10, v87
	v_cmp_ne_u32_e32 vcc_lo, v83, v32
	s_and_b32 exec_lo, exec_lo, vcc_lo
	s_cbranch_execz .LBB6_165
; %bb.161:                              ;   in Loop: Header=BB6_53 Depth=1
	v_ashrrev_i32_e32 v33, 31, v85
	v_lshlrev_b32_e32 v34, 5, v86
	s_delay_alu instid0(VALU_DEP_2) | instskip(NEXT) | instid1(VALU_DEP_1)
	v_lshrrev_b32_e32 v33, 27, v33
	v_add_nc_u32_e32 v33, v85, v33
	s_delay_alu instid0(VALU_DEP_1) | instskip(NEXT) | instid1(VALU_DEP_1)
	v_and_b32_e32 v33, 0xffffffe0, v33
	v_sub_nc_u32_e32 v33, v85, v33
	s_delay_alu instid0(VALU_DEP_1) | instskip(NEXT) | instid1(VALU_DEP_1)
	v_sub_nc_u32_e32 v33, v33, v34
	v_ashrrev_i32_e32 v34, 31, v33
	s_delay_alu instid0(VALU_DEP_1) | instskip(NEXT) | instid1(VALU_DEP_1)
	v_lshrrev_b32_e32 v34, 27, v34
	v_add_nc_u32_e32 v34, v33, v34
	s_delay_alu instid0(VALU_DEP_1) | instskip(SKIP_1) | instid1(VALU_DEP_2)
	v_and_b32_e32 v35, 0x3fffffe0, v34
	v_lshlrev_b32_e32 v34, 2, v34
	v_sub_nc_u32_e32 v33, v33, v35
	s_delay_alu instid0(VALU_DEP_2) | instskip(NEXT) | instid1(VALU_DEP_2)
	v_and_b32_e32 v34, 0xffffff80, v34
	v_lshlrev_b32_e32 v33, 2, v33
	s_delay_alu instid0(VALU_DEP_1) | instskip(NEXT) | instid1(VALU_DEP_1)
	v_add3_u32 v32, v34, v33, v32
	v_sub_nc_u32_e32 v83, v83, v32
	s_delay_alu instid0(VALU_DEP_1)
	v_cmp_lt_i32_e32 vcc_lo, 3, v83
	s_and_b32 exec_lo, exec_lo, vcc_lo
	s_cbranch_execz .LBB6_165
; %bb.162:                              ;   in Loop: Header=BB6_53 Depth=1
	s_cbranch_execnz .LBB6_904
; %bb.163:                              ;   in Loop: Header=BB6_53 Depth=1
	ds_load_b128 v[33:36], v0
	ds_load_b64 v[85:86], v0
	v_add_nc_u32_e32 v37, v32, v84
	s_mov_b32 s23, 0
	s_delay_alu instid0(VALU_DEP_1) | instskip(SKIP_2) | instid1(VALU_DEP_2)
	v_ashrrev_i32_e32 v84, 31, v37
	s_waitcnt lgkmcnt(1)
	v_add_co_u32 v32, vcc_lo, v33, v37
	v_add_co_ci_u32_e32 v33, vcc_lo, v34, v84, vcc_lo
	v_add_co_u32 v34, vcc_lo, v35, v37
	v_add_co_ci_u32_e32 v35, vcc_lo, v36, v84, vcc_lo
	s_waitcnt lgkmcnt(0)
	v_add_co_u32 v36, vcc_lo, v85, v37
	v_add_co_ci_u32_e32 v37, vcc_lo, v86, v84, vcc_lo
.LBB6_164:                              ;   Parent Loop BB6_53 Depth=1
                                        ; =>  This Inner Loop Header: Depth=2
	flat_load_b32 v84, v[32:33] slc dlc
	flat_load_b32 v85, v[34:35] slc dlc
	v_add_co_u32 v32, vcc_lo, v32, v71
	v_sub_nc_u32_e32 v83, v83, v66
	v_add_co_ci_u32_e32 v33, vcc_lo, v33, v80, vcc_lo
	v_add_co_u32 v34, vcc_lo, v34, v71
	v_add_co_ci_u32_e32 v35, vcc_lo, v35, v80, vcc_lo
	s_delay_alu instid0(VALU_DEP_4)
	v_cmp_gt_i32_e32 vcc_lo, 4, v83
	s_or_b32 s23, vcc_lo, s23
	s_waitcnt vmcnt(0) lgkmcnt(0)
	v_mul_f32_e32 v84, v84, v85
	flat_store_b32 v[36:37], v84 glc slc dlc
	v_add_co_u32 v36, s11, v36, v71
	s_delay_alu instid0(VALU_DEP_1)
	v_add_co_ci_u32_e64 v37, s11, v37, v80, s11
	s_and_not1_b32 exec_lo, exec_lo, s23
	s_cbranch_execnz .LBB6_164
.LBB6_165:                              ;   in Loop: Header=BB6_53 Depth=1
	s_or_b32 exec_lo, exec_lo, s12
	v_cmp_ne_u32_e64 s11, 0, v25
.LBB6_166:                              ;   in Loop: Header=BB6_53 Depth=1
	s_and_saveexec_b32 s12, s3
	s_cbranch_execz .LBB6_188
; %bb.167:                              ;   in Loop: Header=BB6_53 Depth=1
	s_and_saveexec_b32 s23, s4
	s_delay_alu instid0(SALU_CYCLE_1)
	s_xor_b32 s23, exec_lo, s23
	s_cbranch_execz .LBB6_185
; %bb.168:                              ;   in Loop: Header=BB6_53 Depth=1
	s_and_saveexec_b32 s24, s5
	s_cbranch_execz .LBB6_184
; %bb.169:                              ;   in Loop: Header=BB6_53 Depth=1
	s_mov_b32 s26, exec_lo
	s_mov_b32 s25, exec_lo
	v_mbcnt_lo_u32_b32 v25, s26, 0
	s_waitcnt lgkmcnt(0)
	s_waitcnt_vscnt null, 0x0
	buffer_gl1_inv
	buffer_gl0_inv
	v_cmpx_eq_u32_e32 0, v25
	s_cbranch_execz .LBB6_171
; %bb.170:                              ;   in Loop: Header=BB6_53 Depth=1
	s_bcnt1_i32_b32 s26, s26
	s_delay_alu instid0(SALU_CYCLE_1)
	v_mov_b32_e32 v25, s26
	ds_add_u64 v0, v[25:26]
	s_cbranch_execnz .LBB6_894
.LBB6_171:                              ;   in Loop: Header=BB6_53 Depth=1
	s_or_b32 exec_lo, exec_lo, s25
	s_cbranch_execnz .LBB6_870
; %bb.172:                              ;   in Loop: Header=BB6_53 Depth=1
	ds_load_b64 v[32:33], v0
	v_add_co_u32 v10, vcc_lo, v10, v50
	v_add_co_ci_u32_e32 v11, vcc_lo, 0, v11, vcc_lo
	s_mov_b32 s25, exec_lo
	s_waitcnt lgkmcnt(0)
	s_delay_alu instid0(VALU_DEP_1)
	v_cmpx_lt_u64_e64 v[32:33], v[10:11]
	s_cbranch_execz .LBB6_183
; %bb.173:                              ;   in Loop: Header=BB6_53 Depth=1
	s_mov_b32 s26, 0
	s_mov_b32 s29, 0
                                        ; implicit-def: $sgpr27
                                        ; implicit-def: $sgpr28
	s_branch .LBB6_175
.LBB6_174:                              ;   in Loop: Header=BB6_175 Depth=2
	s_or_b32 exec_lo, exec_lo, s30
	s_delay_alu instid0(SALU_CYCLE_1) | instskip(NEXT) | instid1(SALU_CYCLE_1)
	s_and_b32 vcc_lo, exec_lo, vcc_lo
	s_or_b32 s26, vcc_lo, s26
	s_and_not1_b32 s27, s27, exec_lo
	s_and_b32 vcc_lo, s28, exec_lo
	s_delay_alu instid0(SALU_CYCLE_1)
	s_or_b32 s27, s27, vcc_lo
	s_and_not1_b32 exec_lo, exec_lo, s26
	s_cbranch_execz .LBB6_181
.LBB6_175:                              ;   Parent Loop BB6_53 Depth=1
                                        ; =>  This Inner Loop Header: Depth=2
	s_add_i32 s29, s29, 1
                                        ; implicit-def: $sgpr30
	s_delay_alu instid0(SALU_CYCLE_1) | instskip(SKIP_1) | instid1(SALU_CYCLE_1)
	s_cmpk_lg_i32 s29, 0x2710
	s_cselect_b32 vcc_hi, -1, 0
	s_and_b32 vcc_lo, exec_lo, vcc_hi
	s_cbranch_vccz .LBB6_179
.LBB6_176:                              ;   in Loop: Header=BB6_175 Depth=2
	s_and_not1_b32 s28, s28, exec_lo
	s_and_b32 s30, s30, exec_lo
	s_mov_b32 vcc_lo, -1
	s_or_b32 s28, s28, s30
	s_and_saveexec_b32 s30, vcc_hi
	s_cbranch_execz .LBB6_174
; %bb.177:                              ;   in Loop: Header=BB6_175 Depth=2
	s_sleep 1
	s_cbranch_execnz .LBB6_914
; %bb.178:                              ;   in Loop: Header=BB6_175 Depth=2
	ds_load_b64 v[32:33], v0
	s_and_not1_b32 s28, s28, exec_lo
	s_waitcnt lgkmcnt(0)
	v_cmp_ge_u64_e32 vcc_lo, v[32:33], v[10:11]
	s_or_not1_b32 vcc_lo, vcc_lo, exec_lo
	s_branch .LBB6_174
.LBB6_179:                              ;   in Loop: Header=BB6_175 Depth=2
	s_cbranch_execnz .LBB6_920
; %bb.180:                              ;   in Loop: Header=BB6_175 Depth=2
	ds_load_b64 v[32:33], v0
	s_mov_b32 s29, 0
	s_mov_b32 s30, -1
	s_waitcnt lgkmcnt(0)
	flat_load_b32 v25, v[32:33] glc
	s_waitcnt vmcnt(0) lgkmcnt(0)
	buffer_gl1_inv
	buffer_gl0_inv
	v_cmp_eq_u32_e32 vcc_lo, 0, v25
	s_and_not1_b32 vcc_hi, vcc_hi, exec_lo
	s_and_b32 vcc_lo, vcc_lo, exec_lo
	s_delay_alu instid0(SALU_CYCLE_1)
	s_or_b32 vcc_hi, vcc_hi, vcc_lo
	s_branch .LBB6_176
.LBB6_181:                              ;   in Loop: Header=BB6_53 Depth=1
	s_or_b32 exec_lo, exec_lo, s26
	s_and_saveexec_b32 s26, s27
	s_delay_alu instid0(SALU_CYCLE_1)
	s_xor_b32 s26, exec_lo, s26
	s_cbranch_execz .LBB6_183
; %bb.182:                              ;   in Loop: Header=BB6_53 Depth=1
	ds_store_b32 v0, v81
	s_cbranch_execnz .LBB6_944
.LBB6_183:                              ;   in Loop: Header=BB6_53 Depth=1
	s_or_b32 exec_lo, exec_lo, s25
	;;#ASMSTART
	s_wakeup
	;;#ASMEND
.LBB6_184:                              ;   in Loop: Header=BB6_53 Depth=1
	s_or_b32 exec_lo, exec_lo, s24
.LBB6_185:                              ;   in Loop: Header=BB6_53 Depth=1
	s_and_not1_saveexec_b32 s23, s23
	s_cbranch_execz .LBB6_187
; %bb.186:                              ;   in Loop: Header=BB6_53 Depth=1
	s_waitcnt lgkmcnt(0)
	s_waitcnt_vscnt null, 0x0
	buffer_gl1_inv
	buffer_gl0_inv
	s_barrier
.LBB6_187:                              ;   in Loop: Header=BB6_53 Depth=1
	s_or_b32 exec_lo, exec_lo, s23
.LBB6_188:                              ;   in Loop: Header=BB6_53 Depth=1
	s_delay_alu instid0(SALU_CYCLE_1) | instskip(SKIP_1) | instid1(VALU_DEP_1)
	s_or_b32 exec_lo, exec_lo, s12
	v_and_b32_e32 v25, 16, v38
	v_cmp_ne_u32_e32 vcc_lo, 0, v25
	s_and_b32 s12, vcc_lo, s11
	s_delay_alu instid0(SALU_CYCLE_1)
	s_and_saveexec_b32 s11, s12
	s_cbranch_execz .LBB6_190
; %bb.189:                              ;   in Loop: Header=BB6_53 Depth=1
	s_waitcnt lgkmcnt(0)
	s_waitcnt_vscnt null, 0x0
	buffer_gl1_inv
	buffer_gl0_inv
.LBB6_190:                              ;   in Loop: Header=BB6_53 Depth=1
	s_or_b32 exec_lo, exec_lo, s11
	v_cmp_ne_u32_e32 vcc_lo, 0, v25
	s_xor_b32 s11, s10, -1
	s_delay_alu instid0(SALU_CYCLE_1) | instskip(NEXT) | instid1(SALU_CYCLE_1)
	s_and_b32 s12, vcc_lo, s11
	s_and_saveexec_b32 s11, s12
	s_cbranch_execz .LBB6_192
; %bb.191:                              ;   in Loop: Header=BB6_53 Depth=1
	s_waitcnt lgkmcnt(0)
	s_waitcnt_vscnt null, 0x0
	flat_store_b32 v[22:23], v81
.LBB6_192:                              ;   in Loop: Header=BB6_53 Depth=1
	s_or_b32 exec_lo, exec_lo, s11
	v_and_b32_e32 v25, 48, v38
	s_mov_b32 s11, exec_lo
	s_delay_alu instid0(VALU_DEP_1)
	v_cmpx_ne_u32_e32 0, v25
	s_cbranch_execz .LBB6_194
; %bb.193:                              ;   in Loop: Header=BB6_53 Depth=1
	v_add_co_u32 v8, vcc_lo, v8, 1
	v_add_co_ci_u32_e32 v9, vcc_lo, 0, v9, vcc_lo
	s_waitcnt lgkmcnt(0)
	s_waitcnt_vscnt null, 0x0
	flat_store_b64 v[16:17], v[8:9]
.LBB6_194:                              ;   in Loop: Header=BB6_53 Depth=1
	s_or_b32 exec_lo, exec_lo, s11
	v_mov_b32_e32 v25, v82
.LBB6_195:                              ;   in Loop: Header=BB6_53 Depth=1
	s_or_b32 exec_lo, exec_lo, s22
	s_and_saveexec_b32 s12, s21
	s_cbranch_execz .LBB6_255
; %bb.196:                              ;   in Loop: Header=BB6_53 Depth=1
	v_and_b32_e32 v32, 12, v38
	s_mov_b32 s21, -1
	s_mov_b32 s11, exec_lo
	s_delay_alu instid0(VALU_DEP_1)
	v_cmpx_ne_u32_e32 0, v32
	s_cbranch_execz .LBB6_210
; %bb.197:                              ;   in Loop: Header=BB6_53 Depth=1
	s_waitcnt lgkmcnt(0)
	v_and_b32_e32 v34, 8, v38
	s_delay_alu instid0(VALU_DEP_1) | instskip(SKIP_3) | instid1(VALU_DEP_1)
	v_add_co_u32 v35, vcc_lo, v20, v34
	v_add_co_ci_u32_e32 v36, vcc_lo, 0, v21, vcc_lo
	v_add_co_u32 v32, vcc_lo, v8, 1
	v_add_co_ci_u32_e32 v33, vcc_lo, 0, v9, vcc_lo
	v_cmp_lt_u64_e32 vcc_lo, v[35:36], v[32:33]
	v_mov_b32_e32 v35, 1
	s_and_saveexec_b32 s21, vcc_lo
	s_cbranch_execz .LBB6_209
; %bb.198:                              ;   in Loop: Header=BB6_53 Depth=1
	v_mov_b32_e32 v35, 0
	s_mov_b32 s22, 0
                                        ; implicit-def: $sgpr23
	s_branch .LBB6_202
.LBB6_199:                              ;   in Loop: Header=BB6_202 Depth=2
	s_or_b32 exec_lo, exec_lo, s27
	v_mov_b32_e32 v36, 0
	s_or_not1_b32 s26, s26, exec_lo
.LBB6_200:                              ;   in Loop: Header=BB6_202 Depth=2
	s_or_b32 exec_lo, exec_lo, s25
	s_delay_alu instid0(VALU_DEP_1) | instskip(SKIP_2) | instid1(SALU_CYCLE_1)
	v_mov_b32_e32 v35, v36
	s_and_not1_b32 s23, s23, exec_lo
	s_and_b32 s25, s26, exec_lo
	s_or_b32 s23, s23, s25
.LBB6_201:                              ;   in Loop: Header=BB6_202 Depth=2
	s_or_b32 exec_lo, exec_lo, s24
	s_waitcnt vmcnt(0) lgkmcnt(0)
	v_add_co_u32 v36, vcc_lo, v20, v34
	v_add_co_ci_u32_e32 v37, vcc_lo, 0, v21, vcc_lo
	s_xor_b32 s24, s23, -1
	s_delay_alu instid0(VALU_DEP_1) | instskip(SKIP_1) | instid1(SALU_CYCLE_1)
	v_cmp_ge_u64_e32 vcc_lo, v[36:37], v[32:33]
	s_or_b32 s24, s24, vcc_lo
	s_and_b32 s24, exec_lo, s24
	s_delay_alu instid0(SALU_CYCLE_1) | instskip(NEXT) | instid1(SALU_CYCLE_1)
	s_or_b32 s22, s24, s22
	s_and_not1_b32 exec_lo, exec_lo, s22
	s_cbranch_execz .LBB6_208
.LBB6_202:                              ;   Parent Loop BB6_53 Depth=1
                                        ; =>  This Inner Loop Header: Depth=2
	s_sleep 1
	flat_load_b64 v[20:21], v[16:17] glc
	v_and_b32_e32 v36, 64, v38
	s_and_not1_b32 s23, s23, exec_lo
	s_mov_b32 s24, exec_lo
	s_delay_alu instid0(VALU_DEP_1)
	v_cmpx_eq_u32_e32 0, v36
	s_cbranch_execz .LBB6_201
; %bb.203:                              ;   in Loop: Header=BB6_202 Depth=2
	v_add_nc_u32_e32 v36, 1, v35
	s_mov_b32 s26, -1
	s_mov_b32 s25, exec_lo
	v_cmpx_lt_i32_e32 0x270e, v35
	s_cbranch_execz .LBB6_200
; %bb.204:                              ;   in Loop: Header=BB6_202 Depth=2
	s_cbranch_execnz .LBB6_768
; %bb.205:                              ;   in Loop: Header=BB6_202 Depth=2
	ds_load_b64 v[35:36], v0
	s_mov_b32 s27, exec_lo
	s_waitcnt vmcnt(0) lgkmcnt(0)
	s_waitcnt_vscnt null, 0x0
	flat_load_b32 v35, v[35:36] glc
	s_waitcnt vmcnt(0) lgkmcnt(0)
	buffer_gl1_inv
	buffer_gl0_inv
	v_cmpx_ne_u32_e32 0, v35
	s_cbranch_execz .LBB6_199
; %bb.206:                              ;   in Loop: Header=BB6_202 Depth=2
	ds_store_b32 v0, v35
	s_cbranch_execnz .LBB6_792
; %bb.207:                              ;   in Loop: Header=BB6_202 Depth=2
	v_or_b32_e32 v38, 64, v38
	s_xor_b32 s26, exec_lo, -1
	s_branch .LBB6_199
.LBB6_208:                              ;   in Loop: Header=BB6_53 Depth=1
	s_or_b32 exec_lo, exec_lo, s22
	v_and_b32_e32 v35, 12, v38
.LBB6_209:                              ;   in Loop: Header=BB6_53 Depth=1
	s_or_b32 exec_lo, exec_lo, s21
	s_delay_alu instid0(VALU_DEP_1)
	v_cmp_eq_u32_e32 vcc_lo, 0, v35
	;;#ASMSTART
	s_wakeup
	;;#ASMEND
	s_or_not1_b32 s21, vcc_lo, exec_lo
.LBB6_210:                              ;   in Loop: Header=BB6_53 Depth=1
	s_or_b32 exec_lo, exec_lo, s11
	v_sub_nc_u32_e32 v24, v24, v25
	s_xor_b32 s11, s21, -1
	s_delay_alu instid0(VALU_DEP_1)
	v_min_i32_e32 v24, v82, v24
	s_and_saveexec_b32 s21, s11
	s_cbranch_execz .LBB6_225
; %bb.211:                              ;   in Loop: Header=BB6_53 Depth=1
	v_and_b32_e32 v25, 0x108, v38
	s_mov_b32 s11, exec_lo
	s_delay_alu instid0(VALU_DEP_1)
	v_cmpx_ne_u32_e32 0x108, v25
	s_xor_b32 s11, exec_lo, s11
                                        ; implicit-def: $vgpr32_vgpr33
	s_cbranch_execz .LBB6_213
; %bb.212:                              ;   in Loop: Header=BB6_53 Depth=1
	s_waitcnt lgkmcnt(0)
	v_and_b32_e32 v32, 7, v8
.LBB6_213:                              ;   in Loop: Header=BB6_53 Depth=1
	s_and_not1_saveexec_b32 s11, s11
	s_cbranch_execz .LBB6_215
; %bb.214:                              ;   in Loop: Header=BB6_53 Depth=1
	s_waitcnt lgkmcnt(0)
	v_and_b32_e32 v32, 7, v8
	v_ashrrev_i32_e32 v25, 31, v24
	s_delay_alu instid0(VALU_DEP_2) | instskip(NEXT) | instid1(VALU_DEP_2)
	v_mad_u64_u32 v[33:34], null, v32, 24, v[6:7]
	v_lshlrev_b64 v[35:36], 2, v[24:25]
	flat_store_b64 v[33:34], v[35:36] offset:8
.LBB6_215:                              ;   in Loop: Header=BB6_53 Depth=1
	s_or_b32 exec_lo, exec_lo, s11
	v_and_b32_e32 v25, 0x100, v38
	s_mov_b32 s11, -1
	s_mov_b32 s22, exec_lo
                                        ; implicit-def: $vgpr33_vgpr34
	s_delay_alu instid0(VALU_DEP_1)
	v_cmpx_ne_u32_e32 0, v25
	s_cbranch_execnz .LBB6_218
; %bb.216:                              ;   in Loop: Header=BB6_53 Depth=1
	s_or_b32 exec_lo, exec_lo, s22
	s_and_saveexec_b32 s22, s11
	s_cbranch_execnz .LBB6_221
.LBB6_217:                              ;   in Loop: Header=BB6_53 Depth=1
	s_or_b32 exec_lo, exec_lo, s22
	s_cbranch_execnz .LBB6_760
	s_branch .LBB6_222
.LBB6_218:                              ;   in Loop: Header=BB6_53 Depth=1
	v_mad_u64_u32 v[35:36], null, v32, 24, v[6:7]
	s_mov_b32 s23, exec_lo
	s_delay_alu instid0(VALU_DEP_1) | instskip(SKIP_1) | instid1(VALU_DEP_1)
	v_mov_b32_e32 v25, v36
	s_waitcnt lgkmcnt(0)
	v_mad_u64_u32 v[33:34], null, v26, 24, v[25:26]
	s_delay_alu instid0(VALU_DEP_1)
	v_mov_b32_e32 v36, v33
                                        ; implicit-def: $vgpr33_vgpr34
	flat_load_b32 v25, v[35:36]
	s_waitcnt vmcnt(0) lgkmcnt(0)
	v_cmp_ne_u32_e32 vcc_lo, 1, v25
	v_cmpx_eq_u32_e32 1, v25
	s_cbranch_execz .LBB6_220
; %bb.219:                              ;   in Loop: Header=BB6_53 Depth=1
	flat_load_b32 v33, v[35:36] offset:4 glc
	s_waitcnt vmcnt(0) lgkmcnt(0)
	v_ashrrev_i32_e32 v34, 31, v33
	s_delay_alu instid0(VALU_DEP_1)
	v_lshrrev_b64 v[33:34], 2, v[33:34]
.LBB6_220:                              ;   in Loop: Header=BB6_53 Depth=1
	s_or_b32 exec_lo, exec_lo, s23
	s_delay_alu instid0(SALU_CYCLE_1)
	s_or_not1_b32 s11, vcc_lo, exec_lo
	s_or_b32 exec_lo, exec_lo, s22
	s_and_saveexec_b32 s22, s11
	s_cbranch_execz .LBB6_217
.LBB6_221:                              ;   in Loop: Header=BB6_53 Depth=1
	v_mul_lo_u32 v25, v26, v48
	v_mul_lo_u32 v35, v32, v49
	s_waitcnt lgkmcnt(0)
	v_mad_u64_u32 v[33:34], null, v32, v48, 0
	s_delay_alu instid0(VALU_DEP_1)
	v_add3_u32 v34, v34, v35, v25
	s_or_b32 exec_lo, exec_lo, s22
	s_cbranch_execnz .LBB6_760
.LBB6_222:                              ;   in Loop: Header=BB6_53 Depth=1
	s_waitcnt lgkmcnt(0)
	s_delay_alu instid0(VALU_DEP_1) | instskip(SKIP_2) | instid1(VALU_DEP_2)
	v_lshlrev_b64 v[32:33], 2, v[33:34]
	v_and_b32_e32 v25, 0x2000, v38
	s_mov_b32 s11, exec_lo
	v_add_co_u32 v32, vcc_lo, v18, v32
	s_delay_alu instid0(VALU_DEP_3)
	v_add_co_ci_u32_e32 v33, vcc_lo, v19, v33, vcc_lo
	ds_store_b64 v0, v[32:33]
	v_cmpx_ne_u32_e32 0, v25
	s_cbranch_execz .LBB6_224
; %bb.223:                              ;   in Loop: Header=BB6_53 Depth=1
	ds_load_b64 v[32:33], v0 offset:584
	s_waitcnt lgkmcnt(0)
	v_add_co_u32 v32, vcc_lo, v32, 1
	v_add_co_ci_u32_e32 v33, vcc_lo, 0, v33, vcc_lo
	ds_store_b64 v0, v[32:33] offset:584
.LBB6_224:                              ;   in Loop: Header=BB6_53 Depth=1
	s_or_b32 exec_lo, exec_lo, s11
	v_add_co_u32 v8, vcc_lo, v8, 1
	v_add_co_ci_u32_e32 v9, vcc_lo, 0, v9, vcc_lo
.LBB6_225:                              ;   in Loop: Header=BB6_53 Depth=1
	s_or_b32 exec_lo, exec_lo, s21
	s_and_saveexec_b32 s11, s3
	s_cbranch_execz .LBB6_247
; %bb.226:                              ;   in Loop: Header=BB6_53 Depth=1
	s_and_saveexec_b32 s21, s4
	s_delay_alu instid0(SALU_CYCLE_1)
	s_xor_b32 s21, exec_lo, s21
	s_cbranch_execz .LBB6_244
; %bb.227:                              ;   in Loop: Header=BB6_53 Depth=1
	s_and_saveexec_b32 s22, s5
	s_cbranch_execz .LBB6_243
; %bb.228:                              ;   in Loop: Header=BB6_53 Depth=1
	s_mov_b32 s24, exec_lo
	s_mov_b32 s23, exec_lo
	v_mbcnt_lo_u32_b32 v25, s24, 0
	s_waitcnt lgkmcnt(0)
	s_waitcnt_vscnt null, 0x0
	buffer_gl1_inv
	buffer_gl0_inv
	v_cmpx_eq_u32_e32 0, v25
	s_cbranch_execz .LBB6_230
; %bb.229:                              ;   in Loop: Header=BB6_53 Depth=1
	s_bcnt1_i32_b32 s24, s24
	s_delay_alu instid0(SALU_CYCLE_1)
	v_mov_b32_e32 v25, s24
	ds_add_u64 v0, v[25:26]
	s_cbranch_execnz .LBB6_820
.LBB6_230:                              ;   in Loop: Header=BB6_53 Depth=1
	s_or_b32 exec_lo, exec_lo, s23
	s_cbranch_execnz .LBB6_806
; %bb.231:                              ;   in Loop: Header=BB6_53 Depth=1
	ds_load_b64 v[32:33], v0
	v_add_co_u32 v10, vcc_lo, v10, v50
	v_add_co_ci_u32_e32 v11, vcc_lo, 0, v11, vcc_lo
	s_mov_b32 s23, exec_lo
	s_waitcnt lgkmcnt(0)
	s_delay_alu instid0(VALU_DEP_1)
	v_cmpx_lt_u64_e64 v[32:33], v[10:11]
	s_cbranch_execz .LBB6_242
; %bb.232:                              ;   in Loop: Header=BB6_53 Depth=1
	s_mov_b32 s24, 0
	s_mov_b32 s27, 0
                                        ; implicit-def: $sgpr25
                                        ; implicit-def: $sgpr26
	s_branch .LBB6_234
.LBB6_233:                              ;   in Loop: Header=BB6_234 Depth=2
	s_or_b32 exec_lo, exec_lo, vcc_hi
	s_delay_alu instid0(SALU_CYCLE_1) | instskip(NEXT) | instid1(SALU_CYCLE_1)
	s_and_b32 s28, exec_lo, s29
	s_or_b32 s24, s28, s24
	s_and_not1_b32 s25, s25, exec_lo
	s_and_b32 s28, s26, exec_lo
	s_delay_alu instid0(SALU_CYCLE_1)
	s_or_b32 s25, s25, s28
	s_and_not1_b32 exec_lo, exec_lo, s24
	s_cbranch_execz .LBB6_240
.LBB6_234:                              ;   Parent Loop BB6_53 Depth=1
                                        ; =>  This Inner Loop Header: Depth=2
	s_add_i32 s27, s27, 1
                                        ; implicit-def: $sgpr29
	s_delay_alu instid0(SALU_CYCLE_1) | instskip(SKIP_1) | instid1(SALU_CYCLE_1)
	s_cmpk_lg_i32 s27, 0x2710
	s_cselect_b32 s28, -1, 0
	s_and_b32 vcc_lo, exec_lo, s28
	s_cbranch_vccz .LBB6_238
.LBB6_235:                              ;   in Loop: Header=BB6_234 Depth=2
	s_and_not1_b32 s26, s26, exec_lo
	s_and_b32 vcc_lo, s29, exec_lo
	s_mov_b32 s29, -1
	s_or_b32 s26, s26, vcc_lo
	s_and_saveexec_b32 vcc_hi, s28
	s_cbranch_execz .LBB6_233
; %bb.236:                              ;   in Loop: Header=BB6_234 Depth=2
	s_sleep 1
	s_cbranch_execnz .LBB6_866
; %bb.237:                              ;   in Loop: Header=BB6_234 Depth=2
	ds_load_b64 v[32:33], v0
	s_and_not1_b32 s26, s26, exec_lo
	s_waitcnt lgkmcnt(0)
	v_cmp_ge_u64_e32 vcc_lo, v[32:33], v[10:11]
	s_or_not1_b32 s29, vcc_lo, exec_lo
	s_branch .LBB6_233
.LBB6_238:                              ;   in Loop: Header=BB6_234 Depth=2
	s_cbranch_execnz .LBB6_886
; %bb.239:                              ;   in Loop: Header=BB6_234 Depth=2
	ds_load_b64 v[32:33], v0
	s_and_not1_b32 s28, s28, exec_lo
	s_mov_b32 s27, 0
	s_mov_b32 s29, -1
	s_waitcnt lgkmcnt(0)
	flat_load_b32 v25, v[32:33] glc
	s_waitcnt vmcnt(0) lgkmcnt(0)
	buffer_gl1_inv
	buffer_gl0_inv
	v_cmp_eq_u32_e32 vcc_lo, 0, v25
	s_and_b32 vcc_lo, vcc_lo, exec_lo
	s_delay_alu instid0(SALU_CYCLE_1)
	s_or_b32 s28, s28, vcc_lo
	s_branch .LBB6_235
.LBB6_240:                              ;   in Loop: Header=BB6_53 Depth=1
	s_or_b32 exec_lo, exec_lo, s24
	s_and_saveexec_b32 s24, s25
	s_delay_alu instid0(SALU_CYCLE_1)
	s_xor_b32 s24, exec_lo, s24
	s_cbranch_execz .LBB6_242
; %bb.241:                              ;   in Loop: Header=BB6_53 Depth=1
	ds_store_b32 v0, v81
	s_cbranch_execnz .LBB6_934
.LBB6_242:                              ;   in Loop: Header=BB6_53 Depth=1
	s_or_b32 exec_lo, exec_lo, s23
	;;#ASMSTART
	s_wakeup
	;;#ASMEND
.LBB6_243:                              ;   in Loop: Header=BB6_53 Depth=1
	s_or_b32 exec_lo, exec_lo, s22
.LBB6_244:                              ;   in Loop: Header=BB6_53 Depth=1
	s_and_not1_saveexec_b32 s21, s21
	s_cbranch_execz .LBB6_246
; %bb.245:                              ;   in Loop: Header=BB6_53 Depth=1
	s_waitcnt lgkmcnt(0)
	s_waitcnt_vscnt null, 0x0
	buffer_gl1_inv
	buffer_gl0_inv
	s_barrier
.LBB6_246:                              ;   in Loop: Header=BB6_53 Depth=1
	s_or_b32 exec_lo, exec_lo, s21
.LBB6_247:                              ;   in Loop: Header=BB6_53 Depth=1
	s_delay_alu instid0(SALU_CYCLE_1)
	s_or_b32 exec_lo, exec_lo, s11
	s_cbranch_execnz .LBB6_747
; %bb.248:                              ;   in Loop: Header=BB6_53 Depth=1
	ds_load_b32 v25, v0
	v_cmp_lt_i32_e32 vcc_lo, 0, v24
	s_waitcnt lgkmcnt(0)
	v_readfirstlane_b32 s11, v25
	v_and_b32_e32 v25, 16, v38
	s_delay_alu instid0(VALU_DEP_2) | instskip(NEXT) | instid1(VALU_DEP_1)
	s_cmp_eq_u32 s11, 0
	v_cmp_ne_u32_e64 s11, 0, v25
	s_cselect_b32 s21, -1, 0
	s_delay_alu instid0(SALU_CYCLE_1)
	s_and_b32 s21, vcc_lo, s21
	s_delay_alu instid0(VALU_DEP_1) | instid1(SALU_CYCLE_1)
	s_and_b32 s21, s11, s21
	s_delay_alu instid0(SALU_CYCLE_1)
	s_and_saveexec_b32 s11, s21
	s_cbranch_execz .LBB6_250
; %bb.249:                              ;   in Loop: Header=BB6_53 Depth=1
	s_waitcnt_vscnt null, 0x0
	buffer_gl1_inv
	buffer_gl0_inv
.LBB6_250:                              ;   in Loop: Header=BB6_53 Depth=1
	s_or_b32 exec_lo, exec_lo, s11
	v_cmp_ne_u32_e32 vcc_lo, 0, v25
	s_xor_b32 s11, s10, -1
	s_delay_alu instid0(SALU_CYCLE_1) | instskip(NEXT) | instid1(SALU_CYCLE_1)
	s_and_b32 s21, vcc_lo, s11
	s_and_saveexec_b32 s11, s21
	s_cbranch_execz .LBB6_252
; %bb.251:                              ;   in Loop: Header=BB6_53 Depth=1
	s_waitcnt_vscnt null, 0x0
	flat_store_b32 v[22:23], v81
.LBB6_252:                              ;   in Loop: Header=BB6_53 Depth=1
	s_or_b32 exec_lo, exec_lo, s11
	v_and_b32_e32 v24, 48, v38
	s_mov_b32 s11, exec_lo
	s_delay_alu instid0(VALU_DEP_1)
	v_cmpx_ne_u32_e32 0, v24
	s_cbranch_execz .LBB6_254
; %bb.253:                              ;   in Loop: Header=BB6_53 Depth=1
	v_add_co_u32 v8, vcc_lo, v8, 1
	v_add_co_ci_u32_e32 v9, vcc_lo, 0, v9, vcc_lo
	s_waitcnt lgkmcnt(0)
	s_waitcnt_vscnt null, 0x0
	flat_store_b64 v[16:17], v[8:9]
.LBB6_254:                              ;   in Loop: Header=BB6_53 Depth=1
	s_or_b32 exec_lo, exec_lo, s11
.LBB6_255:                              ;   in Loop: Header=BB6_53 Depth=1
	s_delay_alu instid0(SALU_CYCLE_1) | instskip(SKIP_2) | instid1(VALU_DEP_1)
	s_or_b32 exec_lo, exec_lo, s12
	v_add_co_u32 v27, vcc_lo, v27, v12
	v_add_co_ci_u32_e32 v28, vcc_lo, 0, v28, vcc_lo
	v_cmp_ge_u64_e32 vcc_lo, v[27:28], v[4:5]
	s_or_b32 s18, vcc_lo, s18
	s_delay_alu instid0(SALU_CYCLE_1)
	s_and_not1_b32 exec_lo, exec_lo, s18
	s_cbranch_execnz .LBB6_53
; %bb.256:
	s_or_b32 exec_lo, exec_lo, s18
.LBB6_257:
	s_delay_alu instid0(SALU_CYCLE_1)
	s_or_b32 exec_lo, exec_lo, s17
                                        ; implicit-def: $vgpr24_vgpr25
                                        ; implicit-def: $vgpr4_vgpr5
                                        ; implicit-def: $vgpr48
                                        ; implicit-def: $vgpr20_vgpr21
                                        ; implicit-def: $vgpr18_vgpr19
                                        ; implicit-def: $vgpr16_vgpr17
                                        ; implicit-def: $vgpr0
                                        ; implicit-def: $vgpr30
                                        ; implicit-def: $vgpr12_vgpr13
.LBB6_258:
	s_and_not1_saveexec_b32 s11, s16
	s_cbranch_execz .LBB6_453
; %bb.259:
	v_mov_b32_e32 v10, 0
	v_mov_b32_e32 v11, 0
	s_and_saveexec_b32 s12, s1
	s_cbranch_execz .LBB6_452
; %bb.260:
	v_cmp_ge_i32_e64 s1, v0, v1
	s_cbranch_execnz .LBB6_705
; %bb.261:
	v_ashrrev_i32_e32 v10, 31, v0
	v_lshrrev_b32_e32 v36, 5, v1
	v_and_b32_e32 v11, 31, v31
	s_lshr_b32 s4, s14, 27
	v_cmp_eq_u32_e32 vcc_lo, 32, v1
	v_lshrrev_b32_e32 v10, 27, v10
	v_dual_mov_b32 v70, 1 :: v_dual_lshlrev_b32 v49, 9, v36
	s_add_i32 s10, s14, s4
	v_cmp_ne_u32_e64 s2, 32, v1
	s_waitcnt lgkmcnt(2)
	v_dual_mov_b32 v23, 0 :: v_dual_add_nc_u32 v10, v0, v10
	v_add_nc_u32_e32 v27, 0xfffffe00, v49
	v_cmp_ne_u32_e64 s3, v39, v1
	s_ashr_i32 s17, s10, 5
	s_delay_alu instid0(VALU_DEP_3)
	v_and_b32_e32 v22, 0xffffffe0, v10
	v_ashrrev_i32_e32 v37, 5, v10
	v_lshl_add_u32 v10, v36, 11, 0xfffff800
	v_add_co_u32 v64, s7, 0x200, v27
	s_mov_b32 s16, 0
	s_xor_b32 s18, vcc_lo, -1
	s_delay_alu instid0(VALU_DEP_2) | instskip(SKIP_2) | instid1(VALU_DEP_3)
	v_ashrrev_i32_e32 v26, 31, v10
	v_add_co_u32 v53, s5, 0x800, v10
	v_ashrrev_i32_e32 v10, 31, v27
	v_add_co_ci_u32_e64 v54, s5, 0, v26, s5
	v_mov_b32_e32 v26, 0
	v_mov_b32_e32 v27, 0
	v_cmp_eq_u32_e64 s4, 0, v11
	v_sub_nc_u32_e32 v50, v0, v22
	v_lshlrev_b32_e32 v11, 11, v37
	v_lshl_add_u32 v22, v36, 10, 0xfffffc00
	v_lshlrev_b32_e32 v51, 7, v36
	v_add_co_ci_u32_e64 v65, s7, 0, v10, s7
	s_delay_alu instid0(VALU_DEP_4) | instskip(NEXT) | instid1(VALU_DEP_4)
	v_lshl_add_u32 v52, v50, 4, v11
	v_ashrrev_i32_e32 v10, 31, v22
	s_delay_alu instid0(VALU_DEP_4) | instskip(SKIP_2) | instid1(VALU_DEP_4)
	v_add_nc_u32_e32 v11, 0xffffff80, v51
	v_add_co_u32 v66, s7, 0x400, v22
	v_cmp_le_i32_e64 s5, v50, v30
	v_add_co_ci_u32_e64 v67, s7, 0, v10, s7
	s_delay_alu instid0(VALU_DEP_4) | instskip(SKIP_3) | instid1(VALU_DEP_4)
	v_ashrrev_i32_e32 v10, 31, v11
	v_add_co_u32 v68, s7, 0x80, v11
	v_cmp_gt_i32_e64 s6, 1, v50
	v_ashrrev_i32_e32 v55, 31, v52
	v_add_co_ci_u32_e64 v69, s7, 0, v10, s7
	v_dual_mov_b32 v10, v26 :: v_dual_mov_b32 v11, v27
.LBB6_262:                              ; =>This Loop Header: Depth=1
                                        ;     Child Loop BB6_272 Depth 2
                                        ;     Child Loop BB6_299 Depth 2
	;; [unrolled: 1-line block ×10, first 2 shown]
	v_sub_co_u32 v28, vcc_lo, v4, v26
	v_sub_co_ci_u32_e32 v29, vcc_lo, v5, v27, vcc_lo
	s_waitcnt lgkmcnt(0)
	v_mov_b32_e32 v34, 0
	s_delay_alu instid0(VALU_DEP_2) | instskip(SKIP_2) | instid1(VALU_DEP_2)
	v_cmp_lt_u64_e32 vcc_lo, v[12:13], v[28:29]
	v_cndmask_b32_e32 v28, v28, v12, vcc_lo
	v_cndmask_b32_e64 v29, v29, 0, vcc_lo
	v_add_nc_u32_e32 v22, 15, v28
	s_delay_alu instid0(VALU_DEP_2) | instskip(NEXT) | instid1(VALU_DEP_2)
	v_cmp_eq_u64_e32 vcc_lo, 0, v[28:29]
	v_and_b32_e32 v22, 0x1ffffff0, v22
	s_or_b32 s19, s1, vcc_lo
	s_delay_alu instid0(SALU_CYCLE_1) | instskip(NEXT) | instid1(VALU_DEP_1)
	s_xor_b32 s7, s19, -1
	v_max_i32_e32 v71, s17, v22
	s_and_saveexec_b32 s20, s7
	s_cbranch_execz .LBB6_397
; %bb.263:                              ;   in Loop: Header=BB6_262 Depth=1
	s_and_saveexec_b32 s10, s0
	s_cbranch_execz .LBB6_266
; %bb.264:                              ;   in Loop: Header=BB6_262 Depth=1
	s_cbranch_execnz .LBB6_737
; %bb.265:                              ;   in Loop: Header=BB6_262 Depth=1
	ds_load_2addr_b64 v[32:35], v0 offset1:1
	ds_load_b64 v[29:30], v0
	v_add_co_u32 v80, vcc_lo, v26, v24
	v_add_co_ci_u32_e32 v81, vcc_lo, v27, v25, vcc_lo
	s_delay_alu instid0(VALU_DEP_1) | instskip(SKIP_1) | instid1(VALU_DEP_1)
	v_lshlrev_b64 v[80:81], 2, v[80:81]
	s_waitcnt lgkmcnt(1)
	v_add_co_u32 v32, vcc_lo, v32, v80
	s_delay_alu instid0(VALU_DEP_2)
	v_add_co_ci_u32_e32 v33, vcc_lo, v33, v81, vcc_lo
	s_waitcnt lgkmcnt(0)
	v_add_co_u32 v22, vcc_lo, v29, v80
	v_add_co_ci_u32_e32 v82, vcc_lo, v30, v81, vcc_lo
	v_cmp_ne_u64_e32 vcc_lo, 0, v[29:30]
	v_add_co_u32 v29, s7, v34, v80
	s_delay_alu instid0(VALU_DEP_1) | instskip(NEXT) | instid1(VALU_DEP_4)
	v_add_co_ci_u32_e64 v30, s7, v35, v81, s7
	v_cndmask_b32_e32 v35, 0, v82, vcc_lo
	v_cndmask_b32_e32 v34, 0, v22, vcc_lo
	ds_store_b64 v0, v[32:33]
	ds_store_b64 v0, v[29:30]
	ds_store_b64 v0, v[34:35]
.LBB6_266:                              ;   in Loop: Header=BB6_262 Depth=1
	s_or_b32 exec_lo, exec_lo, s10
	v_and_b32_e32 v22, 4, v38
	s_mov_b32 s10, -1
	s_mov_b32 s7, exec_lo
	s_delay_alu instid0(VALU_DEP_1)
	v_cmpx_ne_u32_e32 0, v22
	s_cbranch_execz .LBB6_280
; %bb.267:                              ;   in Loop: Header=BB6_262 Depth=1
	v_add_co_u32 v29, vcc_lo, v8, 1
	v_add_co_ci_u32_e32 v30, vcc_lo, 0, v9, vcc_lo
	v_mov_b32_e32 v22, 1
	s_mov_b32 s10, exec_lo
	s_delay_alu instid0(VALU_DEP_2)
	v_cmpx_lt_u64_e64 v[20:21], v[29:30]
	s_cbranch_execz .LBB6_279
; %bb.268:                              ;   in Loop: Header=BB6_262 Depth=1
	v_mov_b32_e32 v22, 0
	s_mov_b32 s21, 0
                                        ; implicit-def: $sgpr22
	s_branch .LBB6_272
.LBB6_269:                              ;   in Loop: Header=BB6_272 Depth=2
	s_or_b32 exec_lo, exec_lo, s26
	v_mov_b32_e32 v32, 0
	s_or_not1_b32 s25, s25, exec_lo
.LBB6_270:                              ;   in Loop: Header=BB6_272 Depth=2
	s_or_b32 exec_lo, exec_lo, s24
	s_delay_alu instid0(VALU_DEP_1) | instskip(SKIP_2) | instid1(SALU_CYCLE_1)
	v_mov_b32_e32 v22, v32
	s_and_not1_b32 s22, s22, exec_lo
	s_and_b32 s24, s25, exec_lo
	s_or_b32 s22, s22, s24
.LBB6_271:                              ;   in Loop: Header=BB6_272 Depth=2
	s_or_b32 exec_lo, exec_lo, s23
	s_waitcnt vmcnt(0) lgkmcnt(0)
	v_cmp_ge_u64_e32 vcc_lo, v[20:21], v[29:30]
	s_xor_b32 s23, s22, -1
	s_delay_alu instid0(SALU_CYCLE_1) | instskip(NEXT) | instid1(SALU_CYCLE_1)
	s_or_b32 s23, s23, vcc_lo
	s_and_b32 s23, exec_lo, s23
	s_delay_alu instid0(SALU_CYCLE_1) | instskip(NEXT) | instid1(SALU_CYCLE_1)
	s_or_b32 s21, s23, s21
	s_and_not1_b32 exec_lo, exec_lo, s21
	s_cbranch_execz .LBB6_278
.LBB6_272:                              ;   Parent Loop BB6_262 Depth=1
                                        ; =>  This Inner Loop Header: Depth=2
	s_sleep 1
	flat_load_b64 v[20:21], v[16:17] glc
	v_and_b32_e32 v32, 64, v38
	s_and_not1_b32 s22, s22, exec_lo
	s_mov_b32 s23, exec_lo
	s_delay_alu instid0(VALU_DEP_1)
	v_cmpx_eq_u32_e32 0, v32
	s_cbranch_execz .LBB6_271
; %bb.273:                              ;   in Loop: Header=BB6_272 Depth=2
	v_add_nc_u32_e32 v32, 1, v22
	s_mov_b32 s25, -1
	s_mov_b32 s24, exec_lo
	v_cmpx_lt_i32_e32 0x270e, v22
	s_cbranch_execz .LBB6_270
; %bb.274:                              ;   in Loop: Header=BB6_272 Depth=2
	s_cbranch_execnz .LBB6_762
; %bb.275:                              ;   in Loop: Header=BB6_272 Depth=2
	ds_load_b64 v[32:33], v0
	s_mov_b32 s26, exec_lo
	s_waitcnt vmcnt(0) lgkmcnt(0)
	s_waitcnt_vscnt null, 0x0
	flat_load_b32 v22, v[32:33] glc
	s_waitcnt vmcnt(0) lgkmcnt(0)
	buffer_gl1_inv
	buffer_gl0_inv
	v_cmpx_ne_u32_e32 0, v22
	s_cbranch_execz .LBB6_269
; %bb.276:                              ;   in Loop: Header=BB6_272 Depth=2
	ds_store_b32 v0, v22
	s_cbranch_execnz .LBB6_790
; %bb.277:                              ;   in Loop: Header=BB6_272 Depth=2
	v_or_b32_e32 v38, 64, v38
	s_xor_b32 s25, exec_lo, -1
	s_branch .LBB6_269
.LBB6_278:                              ;   in Loop: Header=BB6_262 Depth=1
	s_or_b32 exec_lo, exec_lo, s21
	v_and_b32_e32 v22, 4, v38
.LBB6_279:                              ;   in Loop: Header=BB6_262 Depth=1
	s_or_b32 exec_lo, exec_lo, s10
	s_delay_alu instid0(VALU_DEP_1)
	v_cmp_eq_u32_e32 vcc_lo, 0, v22
	;;#ASMSTART
	s_wakeup
	;;#ASMEND
	s_or_not1_b32 s10, vcc_lo, exec_lo
.LBB6_280:                              ;   in Loop: Header=BB6_262 Depth=1
	s_or_b32 exec_lo, exec_lo, s7
	s_xor_b32 s7, s10, -1
	s_delay_alu instid0(SALU_CYCLE_1)
	s_and_saveexec_b32 s10, s7
	s_cbranch_execz .LBB6_290
; %bb.281:                              ;   in Loop: Header=BB6_262 Depth=1
	v_and_b32_e32 v22, 0x100, v38
	s_mov_b32 s7, -1
                                        ; implicit-def: $vgpr29_vgpr30
	s_delay_alu instid0(VALU_DEP_1)
	v_cmp_ne_u32_e32 vcc_lo, 0, v22
	v_and_b32_e32 v22, 7, v8
	s_and_saveexec_b32 s21, vcc_lo
	s_cbranch_execz .LBB6_285
; %bb.282:                              ;   in Loop: Header=BB6_262 Depth=1
	s_delay_alu instid0(VALU_DEP_1) | instskip(SKIP_4) | instid1(VALU_DEP_1)
	v_mad_u64_u32 v[32:33], null, v22, 24, v[6:7]
	flat_load_b32 v29, v[32:33]
	s_waitcnt vmcnt(0) lgkmcnt(0)
	v_cmp_ne_u32_e32 vcc_lo, 1, v29
	v_cmp_eq_u32_e64 s7, 1, v29
                                        ; implicit-def: $vgpr29_vgpr30
	s_and_saveexec_b32 s22, s7
	s_cbranch_execz .LBB6_284
; %bb.283:                              ;   in Loop: Header=BB6_262 Depth=1
	flat_load_b32 v29, v[32:33] offset:4 glc
	s_waitcnt vmcnt(0) lgkmcnt(0)
	v_ashrrev_i32_e32 v30, 31, v29
	s_delay_alu instid0(VALU_DEP_1)
	v_lshrrev_b64 v[29:30], 2, v[29:30]
.LBB6_284:                              ;   in Loop: Header=BB6_262 Depth=1
	s_or_b32 exec_lo, exec_lo, s22
	s_delay_alu instid0(SALU_CYCLE_1)
	s_or_not1_b32 s7, vcc_lo, exec_lo
.LBB6_285:                              ;   in Loop: Header=BB6_262 Depth=1
	s_or_b32 exec_lo, exec_lo, s21
	s_and_saveexec_b32 s21, s7
; %bb.286:                              ;   in Loop: Header=BB6_262 Depth=1
	v_mad_i64_i32 v[29:30], null, v22, v48, 0
; %bb.287:                              ;   in Loop: Header=BB6_262 Depth=1
	s_or_b32 exec_lo, exec_lo, s21
	s_delay_alu instid0(VALU_DEP_1) | instskip(SKIP_2) | instid1(VALU_DEP_2)
	v_lshlrev_b64 v[29:30], 2, v[29:30]
	v_and_b32_e32 v22, 0x2000, v38
	s_mov_b32 s7, exec_lo
	v_add_co_u32 v29, vcc_lo, v18, v29
	s_delay_alu instid0(VALU_DEP_3)
	v_add_co_ci_u32_e32 v30, vcc_lo, v19, v30, vcc_lo
	ds_store_b64 v0, v[29:30] offset:728
	v_cmpx_ne_u32_e32 0, v22
	s_cbranch_execz .LBB6_289
; %bb.288:                              ;   in Loop: Header=BB6_262 Depth=1
	ds_load_b64 v[29:30], v0 offset:584
	s_waitcnt lgkmcnt(0)
	v_add_co_u32 v29, vcc_lo, v29, 1
	v_add_co_ci_u32_e32 v30, vcc_lo, 0, v30, vcc_lo
	ds_store_b64 v0, v[29:30] offset:584
.LBB6_289:                              ;   in Loop: Header=BB6_262 Depth=1
	s_or_b32 exec_lo, exec_lo, s7
	v_add_co_u32 v8, vcc_lo, v8, 1
	v_add_co_ci_u32_e32 v9, vcc_lo, 0, v9, vcc_lo
.LBB6_290:                              ;   in Loop: Header=BB6_262 Depth=1
	s_or_b32 exec_lo, exec_lo, s10
	s_and_saveexec_b32 s7, s2
	s_cbranch_execz .LBB6_312
; %bb.291:                              ;   in Loop: Header=BB6_262 Depth=1
	s_and_saveexec_b32 s10, s3
	s_delay_alu instid0(SALU_CYCLE_1)
	s_xor_b32 s10, exec_lo, s10
	s_cbranch_execz .LBB6_309
; %bb.292:                              ;   in Loop: Header=BB6_262 Depth=1
	s_and_saveexec_b32 s21, s4
	s_cbranch_execz .LBB6_308
; %bb.293:                              ;   in Loop: Header=BB6_262 Depth=1
	s_mov_b32 s23, exec_lo
	s_mov_b32 s22, exec_lo
	v_mbcnt_lo_u32_b32 v22, s23, 0
	s_waitcnt lgkmcnt(0)
	s_waitcnt_vscnt null, 0x0
	buffer_gl1_inv
	buffer_gl0_inv
	v_cmpx_eq_u32_e32 0, v22
	s_cbranch_execz .LBB6_295
; %bb.294:                              ;   in Loop: Header=BB6_262 Depth=1
	s_bcnt1_i32_b32 s23, s23
	s_delay_alu instid0(SALU_CYCLE_1)
	v_mov_b32_e32 v22, s23
	ds_add_u64 v0, v[22:23]
	s_cbranch_execnz .LBB6_808
.LBB6_295:                              ;   in Loop: Header=BB6_262 Depth=1
	s_or_b32 exec_lo, exec_lo, s22
	s_cbranch_execnz .LBB6_796
; %bb.296:                              ;   in Loop: Header=BB6_262 Depth=1
	ds_load_b64 v[29:30], v0
	v_add_co_u32 v10, vcc_lo, v10, v36
	v_add_co_ci_u32_e32 v11, vcc_lo, 0, v11, vcc_lo
	s_mov_b32 s22, exec_lo
	s_waitcnt lgkmcnt(0)
	s_delay_alu instid0(VALU_DEP_1)
	v_cmpx_lt_u64_e64 v[29:30], v[10:11]
	s_cbranch_execz .LBB6_307
; %bb.297:                              ;   in Loop: Header=BB6_262 Depth=1
	s_mov_b32 s23, 0
	s_mov_b32 s26, 0
                                        ; implicit-def: $sgpr24
                                        ; implicit-def: $sgpr25
	s_branch .LBB6_299
.LBB6_298:                              ;   in Loop: Header=BB6_299 Depth=2
	s_or_b32 exec_lo, exec_lo, s29
	s_delay_alu instid0(SALU_CYCLE_1) | instskip(NEXT) | instid1(SALU_CYCLE_1)
	s_and_b32 s27, exec_lo, s28
	s_or_b32 s23, s27, s23
	s_and_not1_b32 s24, s24, exec_lo
	s_and_b32 s27, s25, exec_lo
	s_delay_alu instid0(SALU_CYCLE_1)
	s_or_b32 s24, s24, s27
	s_and_not1_b32 exec_lo, exec_lo, s23
	s_cbranch_execz .LBB6_305
.LBB6_299:                              ;   Parent Loop BB6_262 Depth=1
                                        ; =>  This Inner Loop Header: Depth=2
	s_add_i32 s26, s26, 1
                                        ; implicit-def: $sgpr28
	s_delay_alu instid0(SALU_CYCLE_1) | instskip(SKIP_1) | instid1(SALU_CYCLE_1)
	s_cmpk_lg_i32 s26, 0x2710
	s_cselect_b32 s27, -1, 0
	s_and_b32 vcc_lo, exec_lo, s27
	s_cbranch_vccz .LBB6_303
.LBB6_300:                              ;   in Loop: Header=BB6_299 Depth=2
	s_and_not1_b32 s25, s25, exec_lo
	s_and_b32 s29, s28, exec_lo
	s_mov_b32 s28, -1
	s_or_b32 s25, s25, s29
	s_and_saveexec_b32 s29, s27
	s_cbranch_execz .LBB6_298
; %bb.301:                              ;   in Loop: Header=BB6_299 Depth=2
	s_sleep 1
	s_cbranch_execnz .LBB6_840
; %bb.302:                              ;   in Loop: Header=BB6_299 Depth=2
	ds_load_b64 v[29:30], v0
	s_and_not1_b32 s25, s25, exec_lo
	s_waitcnt lgkmcnt(0)
	v_cmp_ge_u64_e32 vcc_lo, v[29:30], v[10:11]
	s_or_not1_b32 s28, vcc_lo, exec_lo
	s_branch .LBB6_298
.LBB6_303:                              ;   in Loop: Header=BB6_299 Depth=2
	s_cbranch_execnz .LBB6_852
; %bb.304:                              ;   in Loop: Header=BB6_299 Depth=2
	ds_load_b64 v[29:30], v0
	s_and_not1_b32 s27, s27, exec_lo
	s_mov_b32 s26, 0
	s_mov_b32 s28, -1
	s_waitcnt lgkmcnt(0)
	flat_load_b32 v22, v[29:30] glc
	s_waitcnt vmcnt(0) lgkmcnt(0)
	buffer_gl1_inv
	buffer_gl0_inv
	v_cmp_eq_u32_e32 vcc_lo, 0, v22
	s_and_b32 s29, vcc_lo, exec_lo
	s_delay_alu instid0(SALU_CYCLE_1)
	s_or_b32 s27, s27, s29
	s_branch .LBB6_300
.LBB6_305:                              ;   in Loop: Header=BB6_262 Depth=1
	s_or_b32 exec_lo, exec_lo, s23
	s_and_saveexec_b32 s23, s24
	s_delay_alu instid0(SALU_CYCLE_1)
	s_xor_b32 s23, exec_lo, s23
	s_cbranch_execz .LBB6_307
; %bb.306:                              ;   in Loop: Header=BB6_262 Depth=1
	ds_store_b32 v0, v70
	s_cbranch_execnz .LBB6_926
.LBB6_307:                              ;   in Loop: Header=BB6_262 Depth=1
	s_or_b32 exec_lo, exec_lo, s22
	;;#ASMSTART
	s_wakeup
	;;#ASMEND
.LBB6_308:                              ;   in Loop: Header=BB6_262 Depth=1
	s_or_b32 exec_lo, exec_lo, s21
.LBB6_309:                              ;   in Loop: Header=BB6_262 Depth=1
	s_and_not1_saveexec_b32 s10, s10
	s_cbranch_execz .LBB6_311
; %bb.310:                              ;   in Loop: Header=BB6_262 Depth=1
	s_waitcnt lgkmcnt(0)
	s_waitcnt_vscnt null, 0x0
	buffer_gl1_inv
	buffer_gl0_inv
	s_barrier
.LBB6_311:                              ;   in Loop: Header=BB6_262 Depth=1
	s_or_b32 exec_lo, exec_lo, s10
.LBB6_312:                              ;   in Loop: Header=BB6_262 Depth=1
	s_delay_alu instid0(SALU_CYCLE_1)
	s_or_b32 exec_lo, exec_lo, s7
	s_cbranch_execnz .LBB6_733
; %bb.313:                              ;   in Loop: Header=BB6_262 Depth=1
	ds_load_b32 v29, v0
	v_and_b32_e32 v22, 0x4000, v38
	s_delay_alu instid0(VALU_DEP_1) | instskip(SKIP_1) | instid1(SALU_CYCLE_1)
	v_cmp_ne_u32_e32 vcc_lo, 0, v22
	s_and_b32 s10, s18, vcc_lo
	s_and_saveexec_b32 s7, s10
	s_cbranch_execz .LBB6_335
; %bb.314:                              ;   in Loop: Header=BB6_262 Depth=1
	s_and_saveexec_b32 s10, s3
	s_delay_alu instid0(SALU_CYCLE_1)
	s_xor_b32 s10, exec_lo, s10
	s_cbranch_execz .LBB6_332
; %bb.315:                              ;   in Loop: Header=BB6_262 Depth=1
	s_and_saveexec_b32 s21, s4
	s_cbranch_execz .LBB6_331
; %bb.316:                              ;   in Loop: Header=BB6_262 Depth=1
	s_mov_b32 s23, exec_lo
	s_mov_b32 s22, exec_lo
	v_mbcnt_lo_u32_b32 v22, s23, 0
	s_waitcnt lgkmcnt(0)
	s_waitcnt_vscnt null, 0x0
	buffer_gl1_inv
	buffer_gl0_inv
	v_cmpx_eq_u32_e32 0, v22
	s_cbranch_execz .LBB6_318
; %bb.317:                              ;   in Loop: Header=BB6_262 Depth=1
	s_bcnt1_i32_b32 s23, s23
	s_delay_alu instid0(SALU_CYCLE_1)
	v_mov_b32_e32 v22, s23
	ds_add_u64 v0, v[22:23]
	s_cbranch_execnz .LBB6_836
.LBB6_318:                              ;   in Loop: Header=BB6_262 Depth=1
	s_or_b32 exec_lo, exec_lo, s22
	s_cbranch_execnz .LBB6_822
; %bb.319:                              ;   in Loop: Header=BB6_262 Depth=1
	ds_load_b64 v[32:33], v0
	v_add_co_u32 v10, vcc_lo, v10, v36
	v_add_co_ci_u32_e32 v11, vcc_lo, 0, v11, vcc_lo
	s_mov_b32 s22, exec_lo
	s_waitcnt lgkmcnt(0)
	s_delay_alu instid0(VALU_DEP_1)
	v_cmpx_lt_u64_e64 v[32:33], v[10:11]
	s_cbranch_execz .LBB6_330
; %bb.320:                              ;   in Loop: Header=BB6_262 Depth=1
	s_mov_b32 s23, 0
	s_mov_b32 s26, 0
                                        ; implicit-def: $sgpr24
                                        ; implicit-def: $sgpr25
	s_branch .LBB6_322
.LBB6_321:                              ;   in Loop: Header=BB6_322 Depth=2
	s_or_b32 exec_lo, exec_lo, s29
	s_delay_alu instid0(SALU_CYCLE_1) | instskip(NEXT) | instid1(SALU_CYCLE_1)
	s_and_b32 s27, exec_lo, s28
	s_or_b32 s23, s27, s23
	s_and_not1_b32 s24, s24, exec_lo
	s_and_b32 s27, s25, exec_lo
	s_delay_alu instid0(SALU_CYCLE_1)
	s_or_b32 s24, s24, s27
	s_and_not1_b32 exec_lo, exec_lo, s23
	s_cbranch_execz .LBB6_328
.LBB6_322:                              ;   Parent Loop BB6_262 Depth=1
                                        ; =>  This Inner Loop Header: Depth=2
	s_add_i32 s26, s26, 1
                                        ; implicit-def: $sgpr28
	s_delay_alu instid0(SALU_CYCLE_1) | instskip(SKIP_1) | instid1(SALU_CYCLE_1)
	s_cmpk_lg_i32 s26, 0x2710
	s_cselect_b32 s27, -1, 0
	s_and_b32 vcc_lo, exec_lo, s27
	s_cbranch_vccz .LBB6_326
.LBB6_323:                              ;   in Loop: Header=BB6_322 Depth=2
	s_and_not1_b32 s25, s25, exec_lo
	s_and_b32 s29, s28, exec_lo
	s_mov_b32 s28, -1
	s_or_b32 s25, s25, s29
	s_and_saveexec_b32 s29, s27
	s_cbranch_execz .LBB6_321
; %bb.324:                              ;   in Loop: Header=BB6_322 Depth=2
	s_sleep 1
	s_cbranch_execnz .LBB6_888
; %bb.325:                              ;   in Loop: Header=BB6_322 Depth=2
	ds_load_b64 v[32:33], v0
	s_and_not1_b32 s25, s25, exec_lo
	s_waitcnt lgkmcnt(0)
	v_cmp_ge_u64_e32 vcc_lo, v[32:33], v[10:11]
	s_or_not1_b32 s28, vcc_lo, exec_lo
	s_branch .LBB6_321
.LBB6_326:                              ;   in Loop: Header=BB6_322 Depth=2
	s_cbranch_execnz .LBB6_898
; %bb.327:                              ;   in Loop: Header=BB6_322 Depth=2
	ds_load_b64 v[32:33], v0
	s_and_not1_b32 s27, s27, exec_lo
	s_mov_b32 s26, 0
	s_mov_b32 s28, -1
	s_waitcnt lgkmcnt(0)
	flat_load_b32 v22, v[32:33] glc
	s_waitcnt vmcnt(0) lgkmcnt(0)
	buffer_gl1_inv
	buffer_gl0_inv
	v_cmp_eq_u32_e32 vcc_lo, 0, v22
	s_and_b32 s29, vcc_lo, exec_lo
	s_delay_alu instid0(SALU_CYCLE_1)
	s_or_b32 s27, s27, s29
	s_branch .LBB6_323
.LBB6_328:                              ;   in Loop: Header=BB6_262 Depth=1
	s_or_b32 exec_lo, exec_lo, s23
	s_and_saveexec_b32 s23, s24
	s_delay_alu instid0(SALU_CYCLE_1)
	s_xor_b32 s23, exec_lo, s23
	s_cbranch_execz .LBB6_330
; %bb.329:                              ;   in Loop: Header=BB6_262 Depth=1
	ds_store_b32 v0, v70
	s_cbranch_execnz .LBB6_936
.LBB6_330:                              ;   in Loop: Header=BB6_262 Depth=1
	s_or_b32 exec_lo, exec_lo, s22
	;;#ASMSTART
	s_wakeup
	;;#ASMEND
.LBB6_331:                              ;   in Loop: Header=BB6_262 Depth=1
	s_or_b32 exec_lo, exec_lo, s21
.LBB6_332:                              ;   in Loop: Header=BB6_262 Depth=1
	s_and_not1_saveexec_b32 s10, s10
	s_cbranch_execz .LBB6_334
; %bb.333:                              ;   in Loop: Header=BB6_262 Depth=1
	s_waitcnt lgkmcnt(0)
	s_waitcnt_vscnt null, 0x0
	buffer_gl1_inv
	buffer_gl0_inv
	s_barrier
.LBB6_334:                              ;   in Loop: Header=BB6_262 Depth=1
	s_or_b32 exec_lo, exec_lo, s10
.LBB6_335:                              ;   in Loop: Header=BB6_262 Depth=1
	s_delay_alu instid0(SALU_CYCLE_1)
	s_or_b32 exec_lo, exec_lo, s7
	s_cbranch_execnz .LBB6_766
; %bb.336:                              ;   in Loop: Header=BB6_262 Depth=1
	ds_load_b64 v[32:33], v0
	v_min_u32_e32 v71, v71, v28
	s_waitcnt lgkmcnt(0)
	v_cmp_eq_u64_e32 vcc_lo, 0, v[32:33]
	s_or_b32 s7, vcc_lo, vcc_lo
	s_delay_alu instid0(SALU_CYCLE_1)
	s_and_b32 vcc_lo, exec_lo, s7
	s_mov_b32 s7, 0
	s_cbranch_vccnz .LBB6_370
; %bb.337:                              ;   in Loop: Header=BB6_262 Depth=1
	s_mov_b32 s7, -1
	s_and_saveexec_b32 s10, s5
	s_cbranch_execz .LBB6_339
; %bb.338:                              ;   in Loop: Header=BB6_262 Depth=1
	ds_load_b32 v22, v0 offset:720
	s_waitcnt lgkmcnt(0)
	v_and_b32_e32 v22, 15, v22
	s_delay_alu instid0(VALU_DEP_1)
	v_cmp_eq_u32_e32 vcc_lo, 0, v22
	s_or_not1_b32 s7, vcc_lo, exec_lo
.LBB6_339:                              ;   in Loop: Header=BB6_262 Depth=1
	s_or_b32 exec_lo, exec_lo, s10
	s_and_saveexec_b32 s10, s6
	s_cbranch_execz .LBB6_341
; %bb.340:                              ;   in Loop: Header=BB6_262 Depth=1
	ds_load_b32 v22, v0 offset:784
	s_waitcnt lgkmcnt(0)
	v_and_b32_e32 v22, 15, v22
	s_delay_alu instid0(VALU_DEP_1) | instskip(SKIP_3) | instid1(SALU_CYCLE_1)
	v_cmp_eq_u32_e32 vcc_lo, 0, v22
	s_and_b32 s21, s7, vcc_lo
	s_and_not1_b32 s7, s7, exec_lo
	s_and_b32 s21, s21, exec_lo
	s_or_b32 s7, s7, s21
.LBB6_341:                              ;   in Loop: Header=BB6_262 Depth=1
	s_or_b32 exec_lo, exec_lo, s10
	v_cmp_eq_u32_e32 vcc_lo, 0, v29
	s_xor_b32 s7, s7, -1
	v_mov_b32_e32 v81, 0
	v_cndmask_b32_e64 v30, 0, 1, s7
	;;#ASMSTART
	;;#ASMEND
	v_cndmask_b32_e32 v22, 0, v71, vcc_lo
	s_delay_alu instid0(VALU_DEP_2) | instskip(SKIP_1) | instid1(VALU_DEP_2)
	v_cmp_ne_u32_e32 vcc_lo, 0, v30
	s_mov_b32 s7, -1
	v_lshlrev_b32_e32 v80, 2, v22
	s_cbranch_vccz .LBB6_343
; %bb.342:                              ;   in Loop: Header=BB6_262 Depth=1
	v_dual_mov_b32 v82, v0 :: v_dual_mov_b32 v29, v37
	s_branch .LBB6_358
.LBB6_343:                              ;   in Loop: Header=BB6_262 Depth=1
	v_lshrrev_b32_e32 v81, 9, v22
	s_mov_b32 s10, exec_lo
	s_delay_alu instid0(VALU_DEP_1) | instskip(NEXT) | instid1(VALU_DEP_1)
	v_sub_nc_u32_e32 v84, v81, v37
	v_cmpx_lt_i32_e32 0, v84
	s_cbranch_execz .LBB6_348
; %bb.344:                              ;   in Loop: Header=BB6_262 Depth=1
	s_cbranch_execnz .LBB6_854
; %bb.345:                              ;   in Loop: Header=BB6_262 Depth=1
	ds_load_b128 v[32:35], v0
	ds_load_b64 v[82:83], v0
	s_mov_b32 s21, 0
	s_waitcnt lgkmcnt(1)
	v_add_co_u32 v29, vcc_lo, v32, v52
	v_add_co_ci_u32_e32 v30, vcc_lo, v33, v55, vcc_lo
	v_add_co_u32 v32, vcc_lo, v34, v52
	v_add_co_ci_u32_e32 v33, vcc_lo, v35, v55, vcc_lo
	s_waitcnt lgkmcnt(0)
	v_add_co_u32 v34, vcc_lo, v82, v52
	v_add_co_ci_u32_e32 v35, vcc_lo, v83, v55, vcc_lo
.LBB6_346:                              ;   Parent Loop BB6_262 Depth=1
                                        ; =>  This Inner Loop Header: Depth=2
	global_load_b128 v[96:99], v[32:33], off slc dlc
	s_clause 0x1
	global_load_b128 v[100:103], v[29:30], off slc dlc
	global_load_b128 v[112:115], v[29:30], off offset:512 slc dlc
	s_clause 0x1
	global_load_b128 v[116:119], v[32:33], off offset:512 slc dlc
	global_load_b128 v[128:131], v[32:33], off offset:1024 slc dlc
	s_clause 0x1
	global_load_b128 v[132:135], v[29:30], off offset:1024 slc dlc
	global_load_b128 v[144:147], v[29:30], off offset:1536 slc dlc
	;; [unrolled: 1-line block ×3, first 2 shown]
	v_add_co_u32 v29, vcc_lo, v29, v53
	v_sub_nc_u32_e32 v84, v84, v36
	v_add_co_ci_u32_e32 v30, vcc_lo, v30, v54, vcc_lo
	v_add_co_u32 v32, vcc_lo, v32, v53
	v_add_co_ci_u32_e32 v33, vcc_lo, v33, v54, vcc_lo
	s_delay_alu instid0(VALU_DEP_4)
	v_cmp_gt_i32_e32 vcc_lo, 1, v84
	s_or_b32 s21, vcc_lo, s21
	s_waitcnt vmcnt(6)
	v_dual_mul_f32 v96, v100, v96 :: v_dual_mul_f32 v97, v101, v97
	v_dual_mul_f32 v98, v102, v98 :: v_dual_mul_f32 v99, v103, v99
	s_waitcnt vmcnt(4)
	v_dual_mul_f32 v100, v112, v116 :: v_dual_mul_f32 v101, v113, v117
	v_dual_mul_f32 v102, v114, v118 :: v_dual_mul_f32 v103, v115, v119
	;; [unrolled: 3-line block ×4, first 2 shown]
	s_clause 0x3
	global_store_b128 v[34:35], v[96:99], off glc slc dlc
	global_store_b128 v[34:35], v[100:103], off offset:512 glc slc dlc
	global_store_b128 v[34:35], v[112:115], off offset:1024 glc slc dlc
	;; [unrolled: 1-line block ×3, first 2 shown]
	v_add_co_u32 v34, s7, v34, v53
	s_delay_alu instid0(VALU_DEP_1)
	v_add_co_ci_u32_e64 v35, s7, v35, v54, s7
	s_and_not1_b32 exec_lo, exec_lo, s21
	s_cbranch_execnz .LBB6_346
; %bb.347:                              ;   in Loop: Header=BB6_262 Depth=1
	s_or_b32 exec_lo, exec_lo, s21
.LBB6_348:                              ;   in Loop: Header=BB6_262 Depth=1
	s_delay_alu instid0(SALU_CYCLE_1) | instskip(SKIP_4) | instid1(VALU_DEP_2)
	s_or_b32 exec_lo, exec_lo, s10
	v_lshlrev_b32_e32 v83, 11, v81
	v_mov_b32_e32 v81, 0
	s_mov_b32 s7, 0
	s_mov_b32 s21, exec_lo
                                        ; implicit-def: $vgpr82
                                        ; implicit-def: $vgpr29
	v_cmpx_ne_u32_e64 v80, v83
	s_cbranch_execz .LBB6_357
; %bb.349:                              ;   in Loop: Header=BB6_262 Depth=1
	v_lshlrev_b32_e32 v29, 5, v84
	v_sub_nc_u32_e32 v32, v80, v83
	s_mov_b32 s22, exec_lo
	s_delay_alu instid0(VALU_DEP_2) | instskip(NEXT) | instid1(VALU_DEP_2)
	v_sub_nc_u32_e32 v29, v50, v29
	v_ashrrev_i32_e32 v33, 31, v32
	s_delay_alu instid0(VALU_DEP_2) | instskip(NEXT) | instid1(VALU_DEP_2)
	v_ashrrev_i32_e32 v30, 31, v29
	v_lshrrev_b32_e32 v33, 23, v33
	s_delay_alu instid0(VALU_DEP_2) | instskip(NEXT) | instid1(VALU_DEP_2)
	v_lshrrev_b32_e32 v30, 27, v30
	v_add_nc_u32_e32 v33, v32, v33
	s_delay_alu instid0(VALU_DEP_2) | instskip(NEXT) | instid1(VALU_DEP_2)
	v_add_nc_u32_e32 v30, v29, v30
	v_and_b32_e32 v84, 0xfffffe00, v33
	v_ashrrev_i32_e32 v33, 9, v33
	s_delay_alu instid0(VALU_DEP_3) | instskip(NEXT) | instid1(VALU_DEP_3)
	v_and_b32_e32 v34, 0xffffffe0, v30
	v_sub_nc_u32_e32 v86, v32, v84
	v_ashrrev_i32_e32 v30, 5, v30
	s_delay_alu instid0(VALU_DEP_3) | instskip(NEXT) | instid1(VALU_DEP_3)
	v_sub_nc_u32_e32 v85, v29, v34
	v_cmp_lt_i32_e32 vcc_lo, 15, v86
	s_delay_alu instid0(VALU_DEP_2) | instskip(SKIP_1) | instid1(VALU_DEP_2)
	v_lshlrev_b32_e32 v29, 4, v85
	v_add_co_ci_u32_e64 v33, s7, 0, v33, vcc_lo
	v_lshl_add_u32 v29, v30, 9, v29
	s_delay_alu instid0(VALU_DEP_2) | instskip(NEXT) | instid1(VALU_DEP_2)
	v_sub_nc_u32_e32 v87, v33, v30
	v_sub_nc_u32_e32 v81, v32, v29
	s_delay_alu instid0(VALU_DEP_1)
	v_cmpx_lt_i32_e32 15, v81
	s_cbranch_execz .LBB6_354
; %bb.350:                              ;   in Loop: Header=BB6_262 Depth=1
	s_cbranch_execnz .LBB6_908
; %bb.351:                              ;   in Loop: Header=BB6_262 Depth=1
	ds_load_b128 v[32:35], v0
	ds_load_b64 v[96:97], v0
	v_add_nc_u32_e32 v82, v29, v83
	s_mov_b32 s23, 0
	s_delay_alu instid0(VALU_DEP_1) | instskip(SKIP_2) | instid1(VALU_DEP_1)
	v_ashrrev_i32_e32 v98, 31, v82
	s_waitcnt lgkmcnt(1)
	v_add_co_u32 v29, s7, v32, v82
	v_add_co_ci_u32_e64 v30, s7, v33, v98, s7
	v_add_co_u32 v32, s7, v34, v82
	s_delay_alu instid0(VALU_DEP_1) | instskip(SKIP_2) | instid1(VALU_DEP_1)
	v_add_co_ci_u32_e64 v33, s7, v35, v98, s7
	s_waitcnt lgkmcnt(0)
	v_add_co_u32 v34, s7, v96, v82
	v_add_co_ci_u32_e64 v35, s7, v97, v98, s7
.LBB6_352:                              ;   Parent Loop BB6_262 Depth=1
                                        ; =>  This Inner Loop Header: Depth=2
	global_load_b128 v[96:99], v[29:30], off slc dlc
	global_load_b128 v[100:103], v[32:33], off slc dlc
	v_add_co_u32 v29, s7, v29, v64
	v_sub_nc_u32_e32 v81, v81, v49
	v_add_co_ci_u32_e64 v30, s7, v30, v65, s7
	v_add_co_u32 v32, s7, v32, v64
	s_delay_alu instid0(VALU_DEP_1) | instskip(NEXT) | instid1(VALU_DEP_4)
	v_add_co_ci_u32_e64 v33, s7, v33, v65, s7
	v_cmp_gt_i32_e64 s7, 16, v81
	v_sub_nc_u32_e32 v87, v87, v36
	s_delay_alu instid0(VALU_DEP_2)
	s_or_b32 s23, s7, s23
	s_waitcnt vmcnt(0)
	v_dual_mul_f32 v96, v96, v100 :: v_dual_mul_f32 v97, v97, v101
	v_dual_mul_f32 v98, v98, v102 :: v_dual_mul_f32 v99, v99, v103
	global_store_b128 v[34:35], v[96:99], off glc slc dlc
	v_add_co_u32 v34, s10, v34, v64
	s_delay_alu instid0(VALU_DEP_1)
	v_add_co_ci_u32_e64 v35, s10, v35, v65, s10
	s_and_not1_b32 exec_lo, exec_lo, s23
	s_cbranch_execnz .LBB6_352
; %bb.353:                              ;   in Loop: Header=BB6_262 Depth=1
	s_or_b32 exec_lo, exec_lo, s23
.LBB6_354:                              ;   in Loop: Header=BB6_262 Depth=1
	s_delay_alu instid0(SALU_CYCLE_1) | instskip(SKIP_3) | instid1(VALU_DEP_1)
	s_or_b32 exec_lo, exec_lo, s22
	v_dual_mov_b32 v81, 0 :: v_dual_and_b32 v30, 12, v80
	s_mov_b32 s10, 0
	s_mov_b32 s22, exec_lo
                                        ; implicit-def: $vgpr82
                                        ; implicit-def: $vgpr29
	v_cndmask_b32_e32 v80, v86, v30, vcc_lo
	s_delay_alu instid0(VALU_DEP_1)
	v_cmpx_ne_u32_e32 0, v80
; %bb.355:                              ;   in Loop: Header=BB6_262 Depth=1
	v_cmp_lt_i32_e64 s7, 0, v87
	v_sub_nc_u32_e32 v30, v86, v30
	s_mov_b32 s10, exec_lo
	s_delay_alu instid0(VALU_DEP_2) | instskip(NEXT) | instid1(VALU_DEP_1)
	v_cndmask_b32_e64 v29, 0, v36, s7
	v_sub_nc_u32_e32 v29, v29, v87
	s_delay_alu instid0(VALU_DEP_1) | instskip(NEXT) | instid1(VALU_DEP_1)
	v_lshl_add_u32 v82, v29, 5, v85
	v_ashrrev_i32_e32 v29, 31, v82
	s_delay_alu instid0(VALU_DEP_1) | instskip(NEXT) | instid1(VALU_DEP_1)
	v_lshrrev_b32_e32 v29, 27, v29
	v_dual_cndmask_b32 v30, 0, v30 :: v_dual_add_nc_u32 v29, v82, v29
	s_delay_alu instid0(VALU_DEP_1) | instskip(NEXT) | instid1(VALU_DEP_2)
	v_add3_u32 v81, v84, v83, v30
	v_ashrrev_i32_e32 v29, 5, v29
; %bb.356:                              ;   in Loop: Header=BB6_262 Depth=1
	s_or_b32 exec_lo, exec_lo, s22
	s_delay_alu instid0(SALU_CYCLE_1)
	s_and_b32 s7, s10, exec_lo
.LBB6_357:                              ;   in Loop: Header=BB6_262 Depth=1
	s_or_b32 exec_lo, exec_lo, s21
.LBB6_358:                              ;   in Loop: Header=BB6_262 Depth=1
	s_and_saveexec_b32 s10, s7
	s_cbranch_execz .LBB6_369
; %bb.359:                              ;   in Loop: Header=BB6_262 Depth=1
	v_ashrrev_i32_e32 v30, 31, v80
	s_mov_b32 s21, exec_lo
	s_delay_alu instid0(VALU_DEP_1) | instskip(NEXT) | instid1(VALU_DEP_1)
	v_lshrrev_b32_e32 v30, 22, v30
	v_add_nc_u32_e32 v30, v80, v30
	s_delay_alu instid0(VALU_DEP_1) | instskip(NEXT) | instid1(VALU_DEP_1)
	v_ashrrev_i32_e32 v84, 10, v30
	v_sub_nc_u32_e32 v83, v84, v29
	s_delay_alu instid0(VALU_DEP_1)
	v_cmpx_lt_i32_e32 0, v83
	s_cbranch_execz .LBB6_364
; %bb.360:                              ;   in Loop: Header=BB6_262 Depth=1
	s_cbranch_execnz .LBB6_848
; %bb.361:                              ;   in Loop: Header=BB6_262 Depth=1
	v_ashrrev_i32_e32 v30, 31, v82
	ds_load_b64 v[85:86], v0
	ds_load_b128 v[32:35], v0
	v_lshlrev_b32_e32 v29, 10, v29
	s_mov_b32 s22, 0
	v_lshrrev_b32_e32 v30, 27, v30
	s_delay_alu instid0(VALU_DEP_1) | instskip(NEXT) | instid1(VALU_DEP_1)
	v_add_nc_u32_e32 v30, v82, v30
	v_and_b32_e32 v30, 0x3fffffe0, v30
	s_delay_alu instid0(VALU_DEP_1) | instskip(SKIP_3) | instid1(VALU_DEP_3)
	v_sub_nc_u32_e32 v30, v82, v30
	s_waitcnt lgkmcnt(1)
	v_add_co_u32 v85, vcc_lo, 0x380, v85
	v_add_co_ci_u32_e32 v86, vcc_lo, 0, v86, vcc_lo
	v_lshlrev_b32_e32 v30, 2, v30
	s_delay_alu instid0(VALU_DEP_1) | instskip(NEXT) | instid1(VALU_DEP_1)
	v_add3_u32 v87, v30, v81, v29
	v_ashrrev_i32_e32 v96, 31, v87
	s_waitcnt lgkmcnt(0)
	v_add_co_u32 v29, vcc_lo, v32, v87
	s_delay_alu instid0(VALU_DEP_2)
	v_add_co_ci_u32_e32 v30, vcc_lo, v33, v96, vcc_lo
	v_add_co_u32 v32, vcc_lo, v34, v87
	v_add_co_ci_u32_e32 v33, vcc_lo, v35, v96, vcc_lo
	v_add_co_u32 v34, vcc_lo, v85, v87
	v_add_co_ci_u32_e32 v35, vcc_lo, v86, v96, vcc_lo
.LBB6_362:                              ;   Parent Loop BB6_262 Depth=1
                                        ; =>  This Inner Loop Header: Depth=2
	s_clause 0x7
	flat_load_b32 v87, v[29:30] slc dlc
	flat_load_b32 v116, v[29:30] offset:128 slc dlc
	flat_load_b32 v117, v[29:30] offset:256 slc dlc
	;; [unrolled: 1-line block ×7, first 2 shown]
	s_clause 0x7
	flat_load_b32 v131, v[32:33] slc dlc
	flat_load_b32 v132, v[32:33] offset:128 slc dlc
	flat_load_b32 v133, v[32:33] offset:256 slc dlc
	;; [unrolled: 1-line block ×7, first 2 shown]
	v_add_co_u32 v85, vcc_lo, 0xfffffc80, v34
	v_add_co_ci_u32_e32 v86, vcc_lo, -1, v35, vcc_lo
	v_add_co_u32 v96, vcc_lo, 0xfffffd00, v34
	v_add_co_ci_u32_e32 v97, vcc_lo, -1, v35, vcc_lo
	;; [unrolled: 2-line block ×7, first 2 shown]
	v_add_co_u32 v29, vcc_lo, v29, v66
	v_sub_nc_u32_e32 v83, v83, v36
	v_add_co_ci_u32_e32 v30, vcc_lo, v30, v67, vcc_lo
	v_add_co_u32 v32, vcc_lo, v32, v66
	v_add_co_ci_u32_e32 v33, vcc_lo, v33, v67, vcc_lo
	s_delay_alu instid0(VALU_DEP_4)
	v_cmp_gt_i32_e32 vcc_lo, 1, v83
	s_or_b32 s22, vcc_lo, s22
	s_waitcnt vmcnt(6) lgkmcnt(6)
	v_dual_mul_f32 v87, v87, v131 :: v_dual_mul_f32 v116, v116, v132
	s_waitcnt vmcnt(4) lgkmcnt(4)
	v_dual_mul_f32 v117, v117, v133 :: v_dual_mul_f32 v118, v118, v134
	;; [unrolled: 2-line block ×4, first 2 shown]
	flat_store_b32 v[85:86], v87 glc slc dlc
	flat_store_b32 v[96:97], v116 glc slc dlc
	;; [unrolled: 1-line block ×8, first 2 shown]
	v_add_co_u32 v34, s7, v34, v66
	s_delay_alu instid0(VALU_DEP_1)
	v_add_co_ci_u32_e64 v35, s7, v35, v67, s7
	s_and_not1_b32 exec_lo, exec_lo, s22
	s_cbranch_execnz .LBB6_362
; %bb.363:                              ;   in Loop: Header=BB6_262 Depth=1
	s_or_b32 exec_lo, exec_lo, s22
.LBB6_364:                              ;   in Loop: Header=BB6_262 Depth=1
	s_delay_alu instid0(SALU_CYCLE_1) | instskip(SKIP_1) | instid1(VALU_DEP_1)
	s_or_b32 exec_lo, exec_lo, s21
	v_lshlrev_b32_e32 v29, 10, v84
	v_cmp_ne_u32_e32 vcc_lo, v80, v29
	s_and_b32 exec_lo, exec_lo, vcc_lo
	s_cbranch_execz .LBB6_369
; %bb.365:                              ;   in Loop: Header=BB6_262 Depth=1
	v_ashrrev_i32_e32 v30, 31, v82
	v_lshlrev_b32_e32 v32, 5, v83
	s_delay_alu instid0(VALU_DEP_2) | instskip(NEXT) | instid1(VALU_DEP_1)
	v_lshrrev_b32_e32 v30, 27, v30
	v_add_nc_u32_e32 v30, v82, v30
	s_delay_alu instid0(VALU_DEP_1) | instskip(NEXT) | instid1(VALU_DEP_1)
	v_and_b32_e32 v30, 0xffffffe0, v30
	v_sub_nc_u32_e32 v30, v82, v30
	s_delay_alu instid0(VALU_DEP_1) | instskip(NEXT) | instid1(VALU_DEP_1)
	v_sub_nc_u32_e32 v30, v30, v32
	v_ashrrev_i32_e32 v32, 31, v30
	s_delay_alu instid0(VALU_DEP_1) | instskip(NEXT) | instid1(VALU_DEP_1)
	v_lshrrev_b32_e32 v32, 27, v32
	v_add_nc_u32_e32 v32, v30, v32
	s_delay_alu instid0(VALU_DEP_1) | instskip(SKIP_1) | instid1(VALU_DEP_2)
	v_and_b32_e32 v33, 0x3fffffe0, v32
	v_lshlrev_b32_e32 v32, 2, v32
	v_sub_nc_u32_e32 v30, v30, v33
	s_delay_alu instid0(VALU_DEP_2) | instskip(NEXT) | instid1(VALU_DEP_2)
	v_and_b32_e32 v32, 0xffffff80, v32
	v_lshlrev_b32_e32 v30, 2, v30
	s_delay_alu instid0(VALU_DEP_1) | instskip(NEXT) | instid1(VALU_DEP_1)
	v_add3_u32 v29, v32, v30, v29
	v_sub_nc_u32_e32 v80, v80, v29
	s_delay_alu instid0(VALU_DEP_1)
	v_cmp_lt_i32_e32 vcc_lo, 3, v80
	s_and_b32 exec_lo, exec_lo, vcc_lo
	s_cbranch_execz .LBB6_369
; %bb.366:                              ;   in Loop: Header=BB6_262 Depth=1
	s_cbranch_execnz .LBB6_902
; %bb.367:                              ;   in Loop: Header=BB6_262 Depth=1
	ds_load_b128 v[32:35], v0
	ds_load_b64 v[82:83], v0
	v_add_nc_u32_e32 v81, v29, v81
	s_mov_b32 s21, 0
	s_delay_alu instid0(VALU_DEP_1) | instskip(SKIP_2) | instid1(VALU_DEP_2)
	v_ashrrev_i32_e32 v84, 31, v81
	s_waitcnt lgkmcnt(1)
	v_add_co_u32 v29, vcc_lo, v32, v81
	v_add_co_ci_u32_e32 v30, vcc_lo, v33, v84, vcc_lo
	v_add_co_u32 v32, vcc_lo, v34, v81
	v_add_co_ci_u32_e32 v33, vcc_lo, v35, v84, vcc_lo
	s_waitcnt lgkmcnt(0)
	v_add_co_u32 v34, vcc_lo, v82, v81
	v_add_co_ci_u32_e32 v35, vcc_lo, v83, v84, vcc_lo
.LBB6_368:                              ;   Parent Loop BB6_262 Depth=1
                                        ; =>  This Inner Loop Header: Depth=2
	flat_load_b32 v81, v[29:30] slc dlc
	flat_load_b32 v82, v[32:33] slc dlc
	v_add_co_u32 v29, vcc_lo, v29, v68
	v_sub_nc_u32_e32 v80, v80, v51
	v_add_co_ci_u32_e32 v30, vcc_lo, v30, v69, vcc_lo
	v_add_co_u32 v32, vcc_lo, v32, v68
	v_add_co_ci_u32_e32 v33, vcc_lo, v33, v69, vcc_lo
	s_delay_alu instid0(VALU_DEP_4)
	v_cmp_gt_i32_e32 vcc_lo, 4, v80
	s_or_b32 s21, vcc_lo, s21
	s_waitcnt vmcnt(0) lgkmcnt(0)
	v_mul_f32_e32 v81, v81, v82
	flat_store_b32 v[34:35], v81 glc slc dlc
	v_add_co_u32 v34, s7, v34, v68
	s_delay_alu instid0(VALU_DEP_1)
	v_add_co_ci_u32_e64 v35, s7, v35, v69, s7
	s_and_not1_b32 exec_lo, exec_lo, s21
	s_cbranch_execnz .LBB6_368
.LBB6_369:                              ;   in Loop: Header=BB6_262 Depth=1
	s_or_b32 exec_lo, exec_lo, s10
	v_cmp_ne_u32_e64 s7, 0, v22
.LBB6_370:                              ;   in Loop: Header=BB6_262 Depth=1
	s_and_saveexec_b32 s10, s2
	s_cbranch_execz .LBB6_392
; %bb.371:                              ;   in Loop: Header=BB6_262 Depth=1
	s_and_saveexec_b32 s21, s3
	s_delay_alu instid0(SALU_CYCLE_1)
	s_xor_b32 s21, exec_lo, s21
	s_cbranch_execz .LBB6_389
; %bb.372:                              ;   in Loop: Header=BB6_262 Depth=1
	s_and_saveexec_b32 s22, s4
	s_cbranch_execz .LBB6_388
; %bb.373:                              ;   in Loop: Header=BB6_262 Depth=1
	s_mov_b32 s24, exec_lo
	s_mov_b32 s23, exec_lo
	v_mbcnt_lo_u32_b32 v22, s24, 0
	s_waitcnt lgkmcnt(0)
	s_waitcnt_vscnt null, 0x0
	buffer_gl1_inv
	buffer_gl0_inv
	v_cmpx_eq_u32_e32 0, v22
	s_cbranch_execz .LBB6_375
; %bb.374:                              ;   in Loop: Header=BB6_262 Depth=1
	s_bcnt1_i32_b32 s24, s24
	s_delay_alu instid0(SALU_CYCLE_1)
	v_mov_b32_e32 v22, s24
	ds_add_u64 v0, v[22:23]
	s_cbranch_execnz .LBB6_890
.LBB6_375:                              ;   in Loop: Header=BB6_262 Depth=1
	s_or_b32 exec_lo, exec_lo, s23
	s_cbranch_execnz .LBB6_868
; %bb.376:                              ;   in Loop: Header=BB6_262 Depth=1
	ds_load_b64 v[29:30], v0
	v_add_co_u32 v10, vcc_lo, v10, v36
	v_add_co_ci_u32_e32 v11, vcc_lo, 0, v11, vcc_lo
	s_mov_b32 s23, exec_lo
	s_waitcnt lgkmcnt(0)
	s_delay_alu instid0(VALU_DEP_1)
	v_cmpx_lt_u64_e64 v[29:30], v[10:11]
	s_cbranch_execz .LBB6_387
; %bb.377:                              ;   in Loop: Header=BB6_262 Depth=1
	s_mov_b32 s24, 0
	s_mov_b32 s27, 0
                                        ; implicit-def: $sgpr25
                                        ; implicit-def: $sgpr26
	s_branch .LBB6_379
.LBB6_378:                              ;   in Loop: Header=BB6_379 Depth=2
	s_or_b32 exec_lo, exec_lo, vcc_hi
	s_delay_alu instid0(SALU_CYCLE_1) | instskip(NEXT) | instid1(SALU_CYCLE_1)
	s_and_b32 s28, exec_lo, s29
	s_or_b32 s24, s28, s24
	s_and_not1_b32 s25, s25, exec_lo
	s_and_b32 s28, s26, exec_lo
	s_delay_alu instid0(SALU_CYCLE_1)
	s_or_b32 s25, s25, s28
	s_and_not1_b32 exec_lo, exec_lo, s24
	s_cbranch_execz .LBB6_385
.LBB6_379:                              ;   Parent Loop BB6_262 Depth=1
                                        ; =>  This Inner Loop Header: Depth=2
	s_add_i32 s27, s27, 1
                                        ; implicit-def: $sgpr29
	s_delay_alu instid0(SALU_CYCLE_1) | instskip(SKIP_1) | instid1(SALU_CYCLE_1)
	s_cmpk_lg_i32 s27, 0x2710
	s_cselect_b32 s28, -1, 0
	s_and_b32 vcc_lo, exec_lo, s28
	s_cbranch_vccz .LBB6_383
.LBB6_380:                              ;   in Loop: Header=BB6_379 Depth=2
	s_and_not1_b32 s26, s26, exec_lo
	s_and_b32 vcc_lo, s29, exec_lo
	s_mov_b32 s29, -1
	s_or_b32 s26, s26, vcc_lo
	s_and_saveexec_b32 vcc_hi, s28
	s_cbranch_execz .LBB6_378
; %bb.381:                              ;   in Loop: Header=BB6_379 Depth=2
	s_sleep 1
	s_cbranch_execnz .LBB6_912
; %bb.382:                              ;   in Loop: Header=BB6_379 Depth=2
	ds_load_b64 v[29:30], v0
	s_and_not1_b32 s26, s26, exec_lo
	s_waitcnt lgkmcnt(0)
	v_cmp_ge_u64_e32 vcc_lo, v[29:30], v[10:11]
	s_or_not1_b32 s29, vcc_lo, exec_lo
	s_branch .LBB6_378
.LBB6_383:                              ;   in Loop: Header=BB6_379 Depth=2
	s_cbranch_execnz .LBB6_918
; %bb.384:                              ;   in Loop: Header=BB6_379 Depth=2
	ds_load_b64 v[29:30], v0
	s_and_not1_b32 s28, s28, exec_lo
	s_mov_b32 s27, 0
	s_mov_b32 s29, -1
	s_waitcnt lgkmcnt(0)
	flat_load_b32 v22, v[29:30] glc
	s_waitcnt vmcnt(0) lgkmcnt(0)
	buffer_gl1_inv
	buffer_gl0_inv
	v_cmp_eq_u32_e32 vcc_lo, 0, v22
	s_and_b32 vcc_lo, vcc_lo, exec_lo
	s_delay_alu instid0(SALU_CYCLE_1)
	s_or_b32 s28, s28, vcc_lo
	s_branch .LBB6_380
.LBB6_385:                              ;   in Loop: Header=BB6_262 Depth=1
	s_or_b32 exec_lo, exec_lo, s24
	s_and_saveexec_b32 s24, s25
	s_delay_alu instid0(SALU_CYCLE_1)
	s_xor_b32 s24, exec_lo, s24
	s_cbranch_execz .LBB6_387
; %bb.386:                              ;   in Loop: Header=BB6_262 Depth=1
	ds_store_b32 v0, v70
	s_cbranch_execnz .LBB6_942
.LBB6_387:                              ;   in Loop: Header=BB6_262 Depth=1
	s_or_b32 exec_lo, exec_lo, s23
	;;#ASMSTART
	s_wakeup
	;;#ASMEND
.LBB6_388:                              ;   in Loop: Header=BB6_262 Depth=1
	s_or_b32 exec_lo, exec_lo, s22
.LBB6_389:                              ;   in Loop: Header=BB6_262 Depth=1
	s_and_not1_saveexec_b32 s21, s21
	s_cbranch_execz .LBB6_391
; %bb.390:                              ;   in Loop: Header=BB6_262 Depth=1
	s_waitcnt lgkmcnt(0)
	s_waitcnt_vscnt null, 0x0
	buffer_gl1_inv
	buffer_gl0_inv
	s_barrier
.LBB6_391:                              ;   in Loop: Header=BB6_262 Depth=1
	s_or_b32 exec_lo, exec_lo, s21
.LBB6_392:                              ;   in Loop: Header=BB6_262 Depth=1
	s_delay_alu instid0(SALU_CYCLE_1) | instskip(SKIP_1) | instid1(VALU_DEP_1)
	s_or_b32 exec_lo, exec_lo, s10
	v_and_b32_e32 v22, 16, v38
	v_cmp_ne_u32_e32 vcc_lo, 0, v22
	s_and_b32 s10, vcc_lo, s7
	s_delay_alu instid0(SALU_CYCLE_1)
	s_and_saveexec_b32 s7, s10
	s_cbranch_execz .LBB6_394
; %bb.393:                              ;   in Loop: Header=BB6_262 Depth=1
	s_waitcnt lgkmcnt(0)
	s_waitcnt_vscnt null, 0x0
	buffer_gl1_inv
	buffer_gl0_inv
.LBB6_394:                              ;   in Loop: Header=BB6_262 Depth=1
	s_or_b32 exec_lo, exec_lo, s7
	v_and_b32_e32 v22, 32, v38
	s_mov_b32 s7, exec_lo
	s_delay_alu instid0(VALU_DEP_1)
	v_cmpx_ne_u32_e32 0, v22
	s_cbranch_execz .LBB6_396
; %bb.395:                              ;   in Loop: Header=BB6_262 Depth=1
	v_add_co_u32 v8, vcc_lo, v8, 1
	v_add_co_ci_u32_e32 v9, vcc_lo, 0, v9, vcc_lo
	s_waitcnt lgkmcnt(0)
	s_waitcnt_vscnt null, 0x0
	flat_store_b64 v[16:17], v[8:9]
.LBB6_396:                              ;   in Loop: Header=BB6_262 Depth=1
	s_or_b32 exec_lo, exec_lo, s7
	v_mov_b32_e32 v34, v71
.LBB6_397:                              ;   in Loop: Header=BB6_262 Depth=1
	s_or_b32 exec_lo, exec_lo, s20
	s_and_saveexec_b32 s10, s19
	s_cbranch_execz .LBB6_450
; %bb.398:                              ;   in Loop: Header=BB6_262 Depth=1
	v_and_b32_e32 v22, 4, v38
	s_mov_b32 s19, -1
	s_mov_b32 s7, exec_lo
	s_delay_alu instid0(VALU_DEP_1)
	v_cmpx_ne_u32_e32 0, v22
	s_cbranch_execz .LBB6_412
; %bb.399:                              ;   in Loop: Header=BB6_262 Depth=1
	v_add_co_u32 v29, vcc_lo, v8, 1
	v_add_co_ci_u32_e32 v30, vcc_lo, 0, v9, vcc_lo
	v_mov_b32_e32 v22, 1
	s_mov_b32 s19, exec_lo
	s_delay_alu instid0(VALU_DEP_2)
	v_cmpx_lt_u64_e64 v[20:21], v[29:30]
	s_cbranch_execz .LBB6_411
; %bb.400:                              ;   in Loop: Header=BB6_262 Depth=1
	v_mov_b32_e32 v22, 0
	s_mov_b32 s20, 0
                                        ; implicit-def: $sgpr21
	s_branch .LBB6_404
.LBB6_401:                              ;   in Loop: Header=BB6_404 Depth=2
	s_or_b32 exec_lo, exec_lo, s25
	v_mov_b32_e32 v32, 0
	s_or_not1_b32 s24, s24, exec_lo
.LBB6_402:                              ;   in Loop: Header=BB6_404 Depth=2
	s_or_b32 exec_lo, exec_lo, s23
	s_delay_alu instid0(VALU_DEP_1) | instskip(SKIP_2) | instid1(SALU_CYCLE_1)
	v_mov_b32_e32 v22, v32
	s_and_not1_b32 s21, s21, exec_lo
	s_and_b32 s23, s24, exec_lo
	s_or_b32 s21, s21, s23
.LBB6_403:                              ;   in Loop: Header=BB6_404 Depth=2
	s_or_b32 exec_lo, exec_lo, s22
	s_waitcnt vmcnt(0) lgkmcnt(0)
	v_cmp_ge_u64_e32 vcc_lo, v[20:21], v[29:30]
	s_xor_b32 s22, s21, -1
	s_delay_alu instid0(SALU_CYCLE_1) | instskip(NEXT) | instid1(SALU_CYCLE_1)
	s_or_b32 s22, s22, vcc_lo
	s_and_b32 s22, exec_lo, s22
	s_delay_alu instid0(SALU_CYCLE_1) | instskip(NEXT) | instid1(SALU_CYCLE_1)
	s_or_b32 s20, s22, s20
	s_and_not1_b32 exec_lo, exec_lo, s20
	s_cbranch_execz .LBB6_410
.LBB6_404:                              ;   Parent Loop BB6_262 Depth=1
                                        ; =>  This Inner Loop Header: Depth=2
	s_sleep 1
	flat_load_b64 v[20:21], v[16:17] glc
	v_and_b32_e32 v32, 64, v38
	s_and_not1_b32 s21, s21, exec_lo
	s_mov_b32 s22, exec_lo
	s_delay_alu instid0(VALU_DEP_1)
	v_cmpx_eq_u32_e32 0, v32
	s_cbranch_execz .LBB6_403
; %bb.405:                              ;   in Loop: Header=BB6_404 Depth=2
	v_add_nc_u32_e32 v32, 1, v22
	s_mov_b32 s24, -1
	s_mov_b32 s23, exec_lo
	v_cmpx_lt_i32_e32 0x270e, v22
	s_cbranch_execz .LBB6_402
; %bb.406:                              ;   in Loop: Header=BB6_404 Depth=2
	s_cbranch_execnz .LBB6_772
; %bb.407:                              ;   in Loop: Header=BB6_404 Depth=2
	ds_load_b64 v[32:33], v0
	s_mov_b32 s25, exec_lo
	s_waitcnt vmcnt(0) lgkmcnt(0)
	s_waitcnt_vscnt null, 0x0
	flat_load_b32 v22, v[32:33] glc
	s_waitcnt vmcnt(0) lgkmcnt(0)
	buffer_gl1_inv
	buffer_gl0_inv
	v_cmpx_ne_u32_e32 0, v22
	s_cbranch_execz .LBB6_401
; %bb.408:                              ;   in Loop: Header=BB6_404 Depth=2
	ds_store_b32 v0, v22
	s_cbranch_execnz .LBB6_802
; %bb.409:                              ;   in Loop: Header=BB6_404 Depth=2
	v_or_b32_e32 v38, 64, v38
	s_xor_b32 s24, exec_lo, -1
	s_branch .LBB6_401
.LBB6_410:                              ;   in Loop: Header=BB6_262 Depth=1
	s_or_b32 exec_lo, exec_lo, s20
	v_and_b32_e32 v22, 4, v38
.LBB6_411:                              ;   in Loop: Header=BB6_262 Depth=1
	s_or_b32 exec_lo, exec_lo, s19
	s_delay_alu instid0(VALU_DEP_1)
	v_cmp_eq_u32_e32 vcc_lo, 0, v22
	;;#ASMSTART
	s_wakeup
	;;#ASMEND
	s_or_not1_b32 s19, vcc_lo, exec_lo
.LBB6_412:                              ;   in Loop: Header=BB6_262 Depth=1
	s_or_b32 exec_lo, exec_lo, s7
	s_xor_b32 s7, s19, -1
	s_delay_alu instid0(SALU_CYCLE_1)
	s_and_saveexec_b32 s19, s7
	s_cbranch_execz .LBB6_422
; %bb.413:                              ;   in Loop: Header=BB6_262 Depth=1
	v_and_b32_e32 v22, 0x100, v38
	s_mov_b32 s7, -1
                                        ; implicit-def: $vgpr29_vgpr30
	s_delay_alu instid0(VALU_DEP_1)
	v_cmp_ne_u32_e32 vcc_lo, 0, v22
	v_and_b32_e32 v22, 7, v8
	s_and_saveexec_b32 s20, vcc_lo
	s_cbranch_execz .LBB6_417
; %bb.414:                              ;   in Loop: Header=BB6_262 Depth=1
	s_delay_alu instid0(VALU_DEP_1) | instskip(SKIP_4) | instid1(VALU_DEP_1)
	v_mad_u64_u32 v[32:33], null, v22, 24, v[6:7]
	flat_load_b32 v29, v[32:33]
	s_waitcnt vmcnt(0) lgkmcnt(0)
	v_cmp_ne_u32_e32 vcc_lo, 1, v29
	v_cmp_eq_u32_e64 s7, 1, v29
                                        ; implicit-def: $vgpr29_vgpr30
	s_and_saveexec_b32 s21, s7
	s_cbranch_execz .LBB6_416
; %bb.415:                              ;   in Loop: Header=BB6_262 Depth=1
	flat_load_b32 v29, v[32:33] offset:4 glc
	s_waitcnt vmcnt(0) lgkmcnt(0)
	v_ashrrev_i32_e32 v30, 31, v29
	s_delay_alu instid0(VALU_DEP_1)
	v_lshrrev_b64 v[29:30], 2, v[29:30]
.LBB6_416:                              ;   in Loop: Header=BB6_262 Depth=1
	s_or_b32 exec_lo, exec_lo, s21
	s_delay_alu instid0(SALU_CYCLE_1)
	s_or_not1_b32 s7, vcc_lo, exec_lo
.LBB6_417:                              ;   in Loop: Header=BB6_262 Depth=1
	s_or_b32 exec_lo, exec_lo, s20
	s_and_saveexec_b32 s20, s7
; %bb.418:                              ;   in Loop: Header=BB6_262 Depth=1
	v_mad_i64_i32 v[29:30], null, v22, v48, 0
; %bb.419:                              ;   in Loop: Header=BB6_262 Depth=1
	s_or_b32 exec_lo, exec_lo, s20
	s_delay_alu instid0(VALU_DEP_1) | instskip(SKIP_2) | instid1(VALU_DEP_2)
	v_lshlrev_b64 v[29:30], 2, v[29:30]
	v_and_b32_e32 v22, 0x2000, v38
	s_mov_b32 s7, exec_lo
	v_add_co_u32 v29, vcc_lo, v18, v29
	s_delay_alu instid0(VALU_DEP_3)
	v_add_co_ci_u32_e32 v30, vcc_lo, v19, v30, vcc_lo
	ds_store_b64 v0, v[29:30] offset:728
	v_cmpx_ne_u32_e32 0, v22
	s_cbranch_execz .LBB6_421
; %bb.420:                              ;   in Loop: Header=BB6_262 Depth=1
	ds_load_b64 v[29:30], v0 offset:584
	s_waitcnt lgkmcnt(0)
	v_add_co_u32 v29, vcc_lo, v29, 1
	v_add_co_ci_u32_e32 v30, vcc_lo, 0, v30, vcc_lo
	ds_store_b64 v0, v[29:30] offset:584
.LBB6_421:                              ;   in Loop: Header=BB6_262 Depth=1
	s_or_b32 exec_lo, exec_lo, s7
	v_add_co_u32 v8, vcc_lo, v8, 1
	v_add_co_ci_u32_e32 v9, vcc_lo, 0, v9, vcc_lo
.LBB6_422:                              ;   in Loop: Header=BB6_262 Depth=1
	s_or_b32 exec_lo, exec_lo, s19
	s_and_saveexec_b32 s7, s2
	s_cbranch_execz .LBB6_444
; %bb.423:                              ;   in Loop: Header=BB6_262 Depth=1
	s_and_saveexec_b32 s19, s3
	s_delay_alu instid0(SALU_CYCLE_1)
	s_xor_b32 s19, exec_lo, s19
	s_cbranch_execz .LBB6_441
; %bb.424:                              ;   in Loop: Header=BB6_262 Depth=1
	s_and_saveexec_b32 s20, s4
	s_cbranch_execz .LBB6_440
; %bb.425:                              ;   in Loop: Header=BB6_262 Depth=1
	s_mov_b32 s22, exec_lo
	s_mov_b32 s21, exec_lo
	v_mbcnt_lo_u32_b32 v22, s22, 0
	s_waitcnt lgkmcnt(0)
	s_waitcnt_vscnt null, 0x0
	buffer_gl1_inv
	buffer_gl0_inv
	v_cmpx_eq_u32_e32 0, v22
	s_cbranch_execz .LBB6_427
; %bb.426:                              ;   in Loop: Header=BB6_262 Depth=1
	s_bcnt1_i32_b32 s22, s22
	s_delay_alu instid0(SALU_CYCLE_1)
	v_mov_b32_e32 v22, s22
	ds_add_u64 v0, v[22:23]
	s_cbranch_execnz .LBB6_818
.LBB6_427:                              ;   in Loop: Header=BB6_262 Depth=1
	s_or_b32 exec_lo, exec_lo, s21
	s_cbranch_execnz .LBB6_804
; %bb.428:                              ;   in Loop: Header=BB6_262 Depth=1
	ds_load_b64 v[29:30], v0
	v_add_co_u32 v10, vcc_lo, v10, v36
	v_add_co_ci_u32_e32 v11, vcc_lo, 0, v11, vcc_lo
	s_mov_b32 s21, exec_lo
	s_waitcnt lgkmcnt(0)
	s_delay_alu instid0(VALU_DEP_1)
	v_cmpx_lt_u64_e64 v[29:30], v[10:11]
	s_cbranch_execz .LBB6_439
; %bb.429:                              ;   in Loop: Header=BB6_262 Depth=1
	s_mov_b32 s22, 0
	s_mov_b32 s25, 0
                                        ; implicit-def: $sgpr23
                                        ; implicit-def: $sgpr24
	s_branch .LBB6_431
.LBB6_430:                              ;   in Loop: Header=BB6_431 Depth=2
	s_or_b32 exec_lo, exec_lo, s28
	s_delay_alu instid0(SALU_CYCLE_1) | instskip(NEXT) | instid1(SALU_CYCLE_1)
	s_and_b32 s26, exec_lo, s27
	s_or_b32 s22, s26, s22
	s_and_not1_b32 s23, s23, exec_lo
	s_and_b32 s26, s24, exec_lo
	s_delay_alu instid0(SALU_CYCLE_1)
	s_or_b32 s23, s23, s26
	s_and_not1_b32 exec_lo, exec_lo, s22
	s_cbranch_execz .LBB6_437
.LBB6_431:                              ;   Parent Loop BB6_262 Depth=1
                                        ; =>  This Inner Loop Header: Depth=2
	s_add_i32 s25, s25, 1
                                        ; implicit-def: $sgpr27
	s_delay_alu instid0(SALU_CYCLE_1) | instskip(SKIP_1) | instid1(SALU_CYCLE_1)
	s_cmpk_lg_i32 s25, 0x2710
	s_cselect_b32 s26, -1, 0
	s_and_b32 vcc_lo, exec_lo, s26
	s_cbranch_vccz .LBB6_435
.LBB6_432:                              ;   in Loop: Header=BB6_431 Depth=2
	s_and_not1_b32 s24, s24, exec_lo
	s_and_b32 s28, s27, exec_lo
	s_mov_b32 s27, -1
	s_or_b32 s24, s24, s28
	s_and_saveexec_b32 s28, s26
	s_cbranch_execz .LBB6_430
; %bb.433:                              ;   in Loop: Header=BB6_431 Depth=2
	s_sleep 1
	s_cbranch_execnz .LBB6_862
; %bb.434:                              ;   in Loop: Header=BB6_431 Depth=2
	ds_load_b64 v[29:30], v0
	s_and_not1_b32 s24, s24, exec_lo
	s_waitcnt lgkmcnt(0)
	v_cmp_ge_u64_e32 vcc_lo, v[29:30], v[10:11]
	s_or_not1_b32 s27, vcc_lo, exec_lo
	s_branch .LBB6_430
.LBB6_435:                              ;   in Loop: Header=BB6_431 Depth=2
	s_cbranch_execnz .LBB6_884
; %bb.436:                              ;   in Loop: Header=BB6_431 Depth=2
	ds_load_b64 v[29:30], v0
	s_and_not1_b32 s26, s26, exec_lo
	s_mov_b32 s25, 0
	s_mov_b32 s27, -1
	s_waitcnt lgkmcnt(0)
	flat_load_b32 v22, v[29:30] glc
	s_waitcnt vmcnt(0) lgkmcnt(0)
	buffer_gl1_inv
	buffer_gl0_inv
	v_cmp_eq_u32_e32 vcc_lo, 0, v22
	s_and_b32 s28, vcc_lo, exec_lo
	s_delay_alu instid0(SALU_CYCLE_1)
	s_or_b32 s26, s26, s28
	s_branch .LBB6_432
.LBB6_437:                              ;   in Loop: Header=BB6_262 Depth=1
	s_or_b32 exec_lo, exec_lo, s22
	s_and_saveexec_b32 s22, s23
	s_delay_alu instid0(SALU_CYCLE_1)
	s_xor_b32 s22, exec_lo, s22
	s_cbranch_execz .LBB6_439
; %bb.438:                              ;   in Loop: Header=BB6_262 Depth=1
	ds_store_b32 v0, v70
	s_cbranch_execnz .LBB6_932
.LBB6_439:                              ;   in Loop: Header=BB6_262 Depth=1
	s_or_b32 exec_lo, exec_lo, s21
	;;#ASMSTART
	s_wakeup
	;;#ASMEND
.LBB6_440:                              ;   in Loop: Header=BB6_262 Depth=1
	s_or_b32 exec_lo, exec_lo, s20
.LBB6_441:                              ;   in Loop: Header=BB6_262 Depth=1
	s_and_not1_saveexec_b32 s19, s19
	s_cbranch_execz .LBB6_443
; %bb.442:                              ;   in Loop: Header=BB6_262 Depth=1
	s_waitcnt lgkmcnt(0)
	s_waitcnt_vscnt null, 0x0
	buffer_gl1_inv
	buffer_gl0_inv
	s_barrier
.LBB6_443:                              ;   in Loop: Header=BB6_262 Depth=1
	s_or_b32 exec_lo, exec_lo, s19
.LBB6_444:                              ;   in Loop: Header=BB6_262 Depth=1
	s_delay_alu instid0(SALU_CYCLE_1)
	s_or_b32 exec_lo, exec_lo, s7
	s_cbranch_execnz .LBB6_743
; %bb.445:                              ;   in Loop: Header=BB6_262 Depth=1
	ds_load_b32 v22, v0
	v_sub_nc_u32_e32 v28, v28, v34
	s_delay_alu instid0(VALU_DEP_1) | instskip(NEXT) | instid1(VALU_DEP_1)
	v_min_i32_e32 v28, v71, v28
	v_cmp_lt_i32_e32 vcc_lo, 0, v28
	s_waitcnt lgkmcnt(0)
	v_readfirstlane_b32 s7, v22
	v_and_b32_e32 v22, 16, v38
	s_delay_alu instid0(VALU_DEP_2) | instskip(NEXT) | instid1(VALU_DEP_1)
	s_cmp_eq_u32 s7, 0
	v_cmp_ne_u32_e64 s7, 0, v22
	s_cselect_b32 s19, -1, 0
	s_delay_alu instid0(SALU_CYCLE_1)
	s_and_b32 s19, vcc_lo, s19
	s_delay_alu instid0(VALU_DEP_1) | instid1(SALU_CYCLE_1)
	s_and_b32 s19, s7, s19
	s_delay_alu instid0(SALU_CYCLE_1)
	s_and_saveexec_b32 s7, s19
	s_cbranch_execz .LBB6_447
; %bb.446:                              ;   in Loop: Header=BB6_262 Depth=1
	s_waitcnt_vscnt null, 0x0
	buffer_gl1_inv
	buffer_gl0_inv
.LBB6_447:                              ;   in Loop: Header=BB6_262 Depth=1
	s_or_b32 exec_lo, exec_lo, s7
	v_and_b32_e32 v22, 32, v38
	s_mov_b32 s7, exec_lo
	s_delay_alu instid0(VALU_DEP_1)
	v_cmpx_ne_u32_e32 0, v22
	s_cbranch_execz .LBB6_449
; %bb.448:                              ;   in Loop: Header=BB6_262 Depth=1
	v_add_co_u32 v8, vcc_lo, v8, 1
	v_add_co_ci_u32_e32 v9, vcc_lo, 0, v9, vcc_lo
	s_waitcnt_vscnt null, 0x0
	flat_store_b64 v[16:17], v[8:9]
.LBB6_449:                              ;   in Loop: Header=BB6_262 Depth=1
	s_or_b32 exec_lo, exec_lo, s7
.LBB6_450:                              ;   in Loop: Header=BB6_262 Depth=1
	s_delay_alu instid0(SALU_CYCLE_1) | instskip(SKIP_2) | instid1(VALU_DEP_1)
	s_or_b32 exec_lo, exec_lo, s10
	v_add_co_u32 v26, vcc_lo, v26, v12
	v_add_co_ci_u32_e32 v27, vcc_lo, 0, v27, vcc_lo
	v_cmp_ge_u64_e32 vcc_lo, v[26:27], v[4:5]
	s_or_b32 s16, vcc_lo, s16
	s_delay_alu instid0(SALU_CYCLE_1)
	s_and_not1_b32 exec_lo, exec_lo, s16
	s_cbranch_execnz .LBB6_262
; %bb.451:
	s_or_b32 exec_lo, exec_lo, s16
.LBB6_452:
	s_delay_alu instid0(SALU_CYCLE_1)
	s_or_b32 exec_lo, exec_lo, s12
.LBB6_453:
	s_delay_alu instid0(SALU_CYCLE_1)
	s_or_b32 exec_lo, exec_lo, s11
                                        ; implicit-def: $vgpr24_vgpr25
                                        ; implicit-def: $vgpr4_vgpr5
                                        ; implicit-def: $vgpr22_vgpr23
                                        ; implicit-def: $vgpr48
                                        ; implicit-def: $vgpr20_vgpr21
                                        ; implicit-def: $vgpr18_vgpr19
                                        ; implicit-def: $vgpr16_vgpr17
                                        ; implicit-def: $vgpr0
                                        ; implicit-def: $vgpr30
                                        ; implicit-def: $vgpr12_vgpr13
.LBB6_454:
	s_and_not1_saveexec_b32 s12, s15
	s_cbranch_execz .LBB6_655
; %bb.455:
	v_mov_b32_e32 v10, 0
	v_mov_b32_e32 v11, 0
	s_mov_b32 s15, exec_lo
	v_cmpx_ne_u64_e32 0, v[4:5]
	s_cbranch_execz .LBB6_654
; %bb.456:
	v_cmp_ge_i32_e64 s1, v0, v1
	s_cbranch_execnz .LBB6_684
; %bb.457:
	v_ashrrev_i32_e32 v10, 31, v0
	v_lshrrev_b32_e32 v50, 5, v1
	v_dual_mov_b32 v26, 0 :: v_dual_and_b32 v11, 31, v31
	s_lshr_b32 s4, s14, 27
	s_delay_alu instid0(VALU_DEP_3) | instskip(NEXT) | instid1(VALU_DEP_3)
	v_lshrrev_b32_e32 v10, 27, v10
	v_dual_mov_b32 v81, 1 :: v_dual_lshlrev_b32 v52, 9, v50
	s_add_i32 s14, s14, s4
	v_cmp_eq_u32_e64 s4, 0, v11
	s_delay_alu instid0(VALU_DEP_3) | instskip(NEXT) | instid1(VALU_DEP_3)
	v_add_nc_u32_e32 v10, v0, v10
	v_add_nc_u32_e32 v29, 0xfffffe00, v52
	v_lshl_add_u32 v11, v50, 10, 0xfffffc00
	v_cmp_eq_u32_e32 vcc_lo, 32, v1
	v_ashrrev_i32_e32 v49, 31, v48
	v_and_b32_e32 v27, 0xffffffe0, v10
	v_ashrrev_i32_e32 v51, 5, v10
	v_lshl_add_u32 v10, v50, 12, 0xfffff000
	v_cmp_ne_u32_e64 s2, 32, v1
	v_cmp_ne_u32_e64 s3, v39, v1
	v_sub_nc_u32_e32 v53, v0, v27
	v_lshlrev_b32_e32 v27, 12, v51
	v_ashrrev_i32_e32 v28, 31, v10
	v_add_co_u32 v55, s5, 0x1000, v10
	s_delay_alu instid0(VALU_DEP_4) | instskip(NEXT) | instid1(VALU_DEP_4)
	v_cmp_lt_i32_e64 s6, v53, v30
	v_lshl_add_u32 v54, v53, 4, v27
	s_delay_alu instid0(VALU_DEP_4)
	v_add_co_ci_u32_e64 v64, s5, 0, v28, s5
	v_mov_b32_e32 v27, 0
	v_mov_b32_e32 v28, 0
	v_ashrrev_i32_e32 v10, 31, v29
	v_lshlrev_b32_e32 v66, 7, v50
	v_add_co_u32 v67, s7, 0x200, v29
	v_cmp_gt_i32_e64 s5, 1, v53
	s_delay_alu instid0(VALU_DEP_4) | instskip(SKIP_4) | instid1(VALU_DEP_4)
	v_add_co_ci_u32_e64 v68, s7, 0, v10, s7
	v_ashrrev_i32_e32 v10, 31, v11
	v_add_nc_u32_e32 v29, 0xffffff80, v66
	v_add_co_u32 v69, s7, 0x400, v11
	v_ashrrev_i32_e32 v65, 31, v54
	v_add_co_ci_u32_e64 v70, s7, 0, v10, s7
	s_delay_alu instid0(VALU_DEP_4) | instskip(SKIP_3) | instid1(VALU_DEP_3)
	v_ashrrev_i32_e32 v10, 31, v29
	v_add_co_u32 v71, s7, 0x80, v29
	v_lshlrev_b64 v[29:30], 2, v[24:25]
	s_ashr_i32 s16, s14, 5
	v_add_co_ci_u32_e64 v80, s7, 0, v10, s7
	v_mov_b32_e32 v10, v27
	s_waitcnt lgkmcnt(2)
	v_cmp_ne_u64_e64 s7, 0, v[22:23]
	v_mov_b32_e32 v11, v28
	s_mov_b32 s14, 0
	s_xor_b32 s17, vcc_lo, -1
.LBB6_458:                              ; =>This Loop Header: Depth=1
                                        ;     Child Loop BB6_468 Depth 2
                                        ;     Child Loop BB6_495 Depth 2
	;; [unrolled: 1-line block ×10, first 2 shown]
	v_sub_co_u32 v24, vcc_lo, v4, v27
	v_sub_co_ci_u32_e32 v25, vcc_lo, v5, v28, vcc_lo
	s_delay_alu instid0(VALU_DEP_1) | instskip(SKIP_2) | instid1(VALU_DEP_1)
	v_cmp_lt_u64_e32 vcc_lo, v[12:13], v[24:25]
	v_cndmask_b32_e64 v25, v25, 0, vcc_lo
	v_cndmask_b32_e32 v24, v24, v12, vcc_lo
	v_cmp_eq_u64_e32 vcc_lo, 0, v[24:25]
	v_dual_mov_b32 v25, 0 :: v_dual_add_nc_u32 v32, 15, v24
	s_or_b32 s18, s1, vcc_lo
	s_delay_alu instid0(VALU_DEP_1) | instskip(SKIP_1) | instid1(VALU_DEP_1)
	v_and_b32_e32 v32, 0x1ffffff0, v32
	s_xor_b32 s10, s18, -1
	v_max_i32_e32 v36, s16, v32
	s_and_saveexec_b32 s19, s10
	s_cbranch_execz .LBB6_595
; %bb.459:                              ;   in Loop: Header=BB6_458 Depth=1
	s_and_saveexec_b32 s10, s0
	s_cbranch_execz .LBB6_462
; %bb.460:                              ;   in Loop: Header=BB6_458 Depth=1
	s_cbranch_execnz .LBB6_725
; %bb.461:                              ;   in Loop: Header=BB6_458 Depth=1
	ds_load_b64 v[32:33], v0
	s_waitcnt lgkmcnt(1)
	v_lshlrev_b64 v[34:35], 2, v[27:28]
	s_waitcnt lgkmcnt(0)
	v_add_co_u32 v25, vcc_lo, v32, v29
	v_add_co_ci_u32_e32 v33, vcc_lo, v33, v30, vcc_lo
	s_delay_alu instid0(VALU_DEP_2) | instskip(NEXT) | instid1(VALU_DEP_2)
	v_add_co_u32 v32, vcc_lo, v25, v34
	v_add_co_ci_u32_e32 v33, vcc_lo, v33, v35, vcc_lo
	v_mov_b32_e32 v25, v26
	ds_store_b64 v0, v[32:33]
	ds_store_b64 v0, v[25:26]
.LBB6_462:                              ;   in Loop: Header=BB6_458 Depth=1
	s_or_b32 exec_lo, exec_lo, s10
	v_and_b32_e32 v25, 8, v38
	s_mov_b32 s11, -1
	s_mov_b32 s10, exec_lo
	s_delay_alu instid0(VALU_DEP_1)
	v_cmpx_ne_u32_e32 0, v25
	s_cbranch_execz .LBB6_476
; %bb.463:                              ;   in Loop: Header=BB6_458 Depth=1
	s_waitcnt lgkmcnt(0)
	v_add_co_u32 v34, vcc_lo, v20, 8
	v_add_co_ci_u32_e32 v35, vcc_lo, 0, v21, vcc_lo
	v_add_co_u32 v32, vcc_lo, v8, 1
	v_add_co_ci_u32_e32 v33, vcc_lo, 0, v9, vcc_lo
	v_mov_b32_e32 v25, 1
	s_mov_b32 s11, exec_lo
	s_delay_alu instid0(VALU_DEP_2)
	v_cmpx_lt_u64_e64 v[34:35], v[32:33]
	s_cbranch_execz .LBB6_475
; %bb.464:                              ;   in Loop: Header=BB6_458 Depth=1
	v_mov_b32_e32 v25, 0
	s_mov_b32 s20, 0
                                        ; implicit-def: $sgpr21
	s_branch .LBB6_468
.LBB6_465:                              ;   in Loop: Header=BB6_468 Depth=2
	s_or_b32 exec_lo, exec_lo, s25
	v_mov_b32_e32 v34, 0
	s_or_not1_b32 s24, s24, exec_lo
.LBB6_466:                              ;   in Loop: Header=BB6_468 Depth=2
	s_or_b32 exec_lo, exec_lo, s23
	s_delay_alu instid0(VALU_DEP_1) | instskip(SKIP_2) | instid1(SALU_CYCLE_1)
	v_mov_b32_e32 v25, v34
	s_and_not1_b32 s21, s21, exec_lo
	s_and_b32 s23, s24, exec_lo
	s_or_b32 s21, s21, s23
.LBB6_467:                              ;   in Loop: Header=BB6_468 Depth=2
	s_or_b32 exec_lo, exec_lo, s22
	s_waitcnt vmcnt(0) lgkmcnt(0)
	v_add_co_u32 v34, vcc_lo, v20, 8
	v_add_co_ci_u32_e32 v35, vcc_lo, 0, v21, vcc_lo
	s_xor_b32 s22, s21, -1
	s_delay_alu instid0(VALU_DEP_1) | instskip(SKIP_1) | instid1(SALU_CYCLE_1)
	v_cmp_ge_u64_e32 vcc_lo, v[34:35], v[32:33]
	s_or_b32 s22, s22, vcc_lo
	s_and_b32 s22, exec_lo, s22
	s_delay_alu instid0(SALU_CYCLE_1) | instskip(NEXT) | instid1(SALU_CYCLE_1)
	s_or_b32 s20, s22, s20
	s_and_not1_b32 exec_lo, exec_lo, s20
	s_cbranch_execz .LBB6_474
.LBB6_468:                              ;   Parent Loop BB6_458 Depth=1
                                        ; =>  This Inner Loop Header: Depth=2
	s_sleep 1
	flat_load_b64 v[20:21], v[16:17] glc
	v_and_b32_e32 v34, 64, v38
	s_and_not1_b32 s21, s21, exec_lo
	s_mov_b32 s22, exec_lo
	s_delay_alu instid0(VALU_DEP_1)
	v_cmpx_eq_u32_e32 0, v34
	s_cbranch_execz .LBB6_467
; %bb.469:                              ;   in Loop: Header=BB6_468 Depth=2
	v_add_nc_u32_e32 v34, 1, v25
	s_mov_b32 s24, -1
	s_mov_b32 s23, exec_lo
	v_cmpx_lt_i32_e32 0x270e, v25
	s_cbranch_execz .LBB6_466
; %bb.470:                              ;   in Loop: Header=BB6_468 Depth=2
	s_cbranch_execnz .LBB6_731
; %bb.471:                              ;   in Loop: Header=BB6_468 Depth=2
	ds_load_b64 v[34:35], v0
	s_mov_b32 s25, exec_lo
	s_waitcnt vmcnt(0) lgkmcnt(0)
	s_waitcnt_vscnt null, 0x0
	flat_load_b32 v25, v[34:35] glc
	s_waitcnt vmcnt(0) lgkmcnt(0)
	buffer_gl1_inv
	buffer_gl0_inv
	v_cmpx_ne_u32_e32 0, v25
	s_cbranch_execz .LBB6_465
; %bb.472:                              ;   in Loop: Header=BB6_468 Depth=2
	ds_store_b32 v0, v25
	s_cbranch_execnz .LBB6_774
; %bb.473:                              ;   in Loop: Header=BB6_468 Depth=2
	v_or_b32_e32 v38, 64, v38
	s_xor_b32 s24, exec_lo, -1
	s_branch .LBB6_465
.LBB6_474:                              ;   in Loop: Header=BB6_458 Depth=1
	s_or_b32 exec_lo, exec_lo, s20
	v_and_b32_e32 v25, 8, v38
.LBB6_475:                              ;   in Loop: Header=BB6_458 Depth=1
	s_or_b32 exec_lo, exec_lo, s11
	s_delay_alu instid0(VALU_DEP_1)
	v_cmp_eq_u32_e32 vcc_lo, 0, v25
	;;#ASMSTART
	s_wakeup
	;;#ASMEND
	s_or_not1_b32 s11, vcc_lo, exec_lo
.LBB6_476:                              ;   in Loop: Header=BB6_458 Depth=1
	s_or_b32 exec_lo, exec_lo, s10
	v_min_u32_e32 v36, v36, v24
	s_xor_b32 s10, s11, -1
	s_delay_alu instid0(SALU_CYCLE_1)
	s_and_saveexec_b32 s11, s10
	s_cbranch_execz .LBB6_486
; %bb.477:                              ;   in Loop: Header=BB6_458 Depth=1
	v_and_b32_e32 v25, 0x100, v38
	s_waitcnt lgkmcnt(0)
	v_and_b32_e32 v37, 7, v8
	s_mov_b32 s10, -1
	s_mov_b32 s20, exec_lo
                                        ; implicit-def: $vgpr32_vgpr33
	v_cmpx_ne_u32_e32 0, v25
	s_cbranch_execz .LBB6_481
; %bb.478:                              ;   in Loop: Header=BB6_458 Depth=1
	v_mad_u64_u32 v[34:35], null, v37, 24, v[6:7]
	v_lshlrev_b32_e32 v25, 2, v36
	flat_load_b32 v32, v[34:35]
	flat_store_b64 v[34:35], v[25:26] offset:8
	s_waitcnt vmcnt(0) lgkmcnt(1)
	v_cmp_ne_u32_e32 vcc_lo, 1, v32
	v_cmp_eq_u32_e64 s10, 1, v32
                                        ; implicit-def: $vgpr32_vgpr33
	s_delay_alu instid0(VALU_DEP_1)
	s_and_saveexec_b32 s21, s10
	s_cbranch_execz .LBB6_480
; %bb.479:                              ;   in Loop: Header=BB6_458 Depth=1
	flat_load_b32 v32, v[34:35] offset:4 glc
	s_waitcnt vmcnt(0) lgkmcnt(0)
	v_ashrrev_i32_e32 v33, 31, v32
	s_delay_alu instid0(VALU_DEP_1)
	v_lshrrev_b64 v[32:33], 2, v[32:33]
.LBB6_480:                              ;   in Loop: Header=BB6_458 Depth=1
	s_or_b32 exec_lo, exec_lo, s21
	s_delay_alu instid0(SALU_CYCLE_1)
	s_or_not1_b32 s10, vcc_lo, exec_lo
.LBB6_481:                              ;   in Loop: Header=BB6_458 Depth=1
	s_or_b32 exec_lo, exec_lo, s20
	s_and_saveexec_b32 s20, s10
; %bb.482:                              ;   in Loop: Header=BB6_458 Depth=1
	v_mad_i64_i32 v[32:33], null, v37, v48, 0
; %bb.483:                              ;   in Loop: Header=BB6_458 Depth=1
	s_or_b32 exec_lo, exec_lo, s20
	s_delay_alu instid0(VALU_DEP_1) | instskip(SKIP_2) | instid1(VALU_DEP_2)
	v_lshlrev_b64 v[32:33], 2, v[32:33]
	v_and_b32_e32 v25, 0x2000, v38
	s_mov_b32 s10, exec_lo
	v_add_co_u32 v32, vcc_lo, v18, v32
	s_delay_alu instid0(VALU_DEP_3)
	v_add_co_ci_u32_e32 v33, vcc_lo, v19, v33, vcc_lo
	ds_store_b64 v0, v[32:33] offset:784
	v_cmpx_ne_u32_e32 0, v25
	s_cbranch_execz .LBB6_485
; %bb.484:                              ;   in Loop: Header=BB6_458 Depth=1
	ds_load_b64 v[32:33], v0 offset:584
	s_waitcnt lgkmcnt(0)
	v_add_co_u32 v32, vcc_lo, v32, 1
	v_add_co_ci_u32_e32 v33, vcc_lo, 0, v33, vcc_lo
	ds_store_b64 v0, v[32:33] offset:584
.LBB6_485:                              ;   in Loop: Header=BB6_458 Depth=1
	s_or_b32 exec_lo, exec_lo, s10
	v_add_co_u32 v8, vcc_lo, v8, 1
	v_add_co_ci_u32_e32 v9, vcc_lo, 0, v9, vcc_lo
.LBB6_486:                              ;   in Loop: Header=BB6_458 Depth=1
	s_or_b32 exec_lo, exec_lo, s11
	s_and_saveexec_b32 s10, s2
	s_cbranch_execz .LBB6_508
; %bb.487:                              ;   in Loop: Header=BB6_458 Depth=1
	s_and_saveexec_b32 s11, s3
	s_delay_alu instid0(SALU_CYCLE_1)
	s_xor_b32 s11, exec_lo, s11
	s_cbranch_execz .LBB6_505
; %bb.488:                              ;   in Loop: Header=BB6_458 Depth=1
	s_and_saveexec_b32 s20, s4
	s_cbranch_execz .LBB6_504
; %bb.489:                              ;   in Loop: Header=BB6_458 Depth=1
	s_mov_b32 s22, exec_lo
	s_mov_b32 s21, exec_lo
	v_mbcnt_lo_u32_b32 v25, s22, 0
	s_waitcnt lgkmcnt(0)
	s_waitcnt_vscnt null, 0x0
	buffer_gl1_inv
	buffer_gl0_inv
	v_cmpx_eq_u32_e32 0, v25
	s_cbranch_execz .LBB6_491
; %bb.490:                              ;   in Loop: Header=BB6_458 Depth=1
	s_bcnt1_i32_b32 s22, s22
	s_delay_alu instid0(SALU_CYCLE_1)
	v_mov_b32_e32 v25, s22
	ds_add_u64 v0, v[25:26]
	s_cbranch_execnz .LBB6_786
.LBB6_491:                              ;   in Loop: Header=BB6_458 Depth=1
	s_or_b32 exec_lo, exec_lo, s21
	s_cbranch_execnz .LBB6_776
; %bb.492:                              ;   in Loop: Header=BB6_458 Depth=1
	ds_load_b64 v[32:33], v0
	v_add_co_u32 v10, vcc_lo, v10, v50
	v_add_co_ci_u32_e32 v11, vcc_lo, 0, v11, vcc_lo
	s_mov_b32 s21, exec_lo
	s_waitcnt lgkmcnt(0)
	s_delay_alu instid0(VALU_DEP_1)
	v_cmpx_lt_u64_e64 v[32:33], v[10:11]
	s_cbranch_execz .LBB6_503
; %bb.493:                              ;   in Loop: Header=BB6_458 Depth=1
	s_mov_b32 s22, 0
	s_mov_b32 s25, 0
                                        ; implicit-def: $sgpr23
                                        ; implicit-def: $sgpr24
	s_branch .LBB6_495
.LBB6_494:                              ;   in Loop: Header=BB6_495 Depth=2
	s_or_b32 exec_lo, exec_lo, s28
	s_delay_alu instid0(SALU_CYCLE_1) | instskip(NEXT) | instid1(SALU_CYCLE_1)
	s_and_b32 s26, exec_lo, s27
	s_or_b32 s22, s26, s22
	s_and_not1_b32 s23, s23, exec_lo
	s_and_b32 s26, s24, exec_lo
	s_delay_alu instid0(SALU_CYCLE_1)
	s_or_b32 s23, s23, s26
	s_and_not1_b32 exec_lo, exec_lo, s22
	s_cbranch_execz .LBB6_501
.LBB6_495:                              ;   Parent Loop BB6_458 Depth=1
                                        ; =>  This Inner Loop Header: Depth=2
	s_add_i32 s25, s25, 1
                                        ; implicit-def: $sgpr27
	s_delay_alu instid0(SALU_CYCLE_1) | instskip(SKIP_1) | instid1(SALU_CYCLE_1)
	s_cmpk_lg_i32 s25, 0x2710
	s_cselect_b32 s26, -1, 0
	s_and_b32 vcc_lo, exec_lo, s26
	s_cbranch_vccz .LBB6_499
.LBB6_496:                              ;   in Loop: Header=BB6_495 Depth=2
	s_and_not1_b32 s24, s24, exec_lo
	s_and_b32 s28, s27, exec_lo
	s_mov_b32 s27, -1
	s_or_b32 s24, s24, s28
	s_and_saveexec_b32 s28, s26
	s_cbranch_execz .LBB6_494
; %bb.497:                              ;   in Loop: Header=BB6_495 Depth=2
	s_sleep 1
	s_cbranch_execnz .LBB6_814
; %bb.498:                              ;   in Loop: Header=BB6_495 Depth=2
	ds_load_b64 v[32:33], v0
	s_and_not1_b32 s24, s24, exec_lo
	s_waitcnt lgkmcnt(0)
	v_cmp_ge_u64_e32 vcc_lo, v[32:33], v[10:11]
	s_or_not1_b32 s27, vcc_lo, exec_lo
	s_branch .LBB6_494
.LBB6_499:                              ;   in Loop: Header=BB6_495 Depth=2
	s_cbranch_execnz .LBB6_824
; %bb.500:                              ;   in Loop: Header=BB6_495 Depth=2
	ds_load_b64 v[32:33], v0
	s_and_not1_b32 s26, s26, exec_lo
	s_mov_b32 s25, 0
	s_mov_b32 s27, -1
	s_waitcnt lgkmcnt(0)
	flat_load_b32 v25, v[32:33] glc
	s_waitcnt vmcnt(0) lgkmcnt(0)
	buffer_gl1_inv
	buffer_gl0_inv
	v_cmp_eq_u32_e32 vcc_lo, 0, v25
	s_and_b32 s28, vcc_lo, exec_lo
	s_delay_alu instid0(SALU_CYCLE_1)
	s_or_b32 s26, s26, s28
	s_branch .LBB6_496
.LBB6_501:                              ;   in Loop: Header=BB6_458 Depth=1
	s_or_b32 exec_lo, exec_lo, s22
	s_and_saveexec_b32 s22, s23
	s_delay_alu instid0(SALU_CYCLE_1)
	s_xor_b32 s22, exec_lo, s22
	s_cbranch_execz .LBB6_503
; %bb.502:                              ;   in Loop: Header=BB6_458 Depth=1
	ds_store_b32 v0, v81
	s_cbranch_execnz .LBB6_922
.LBB6_503:                              ;   in Loop: Header=BB6_458 Depth=1
	s_or_b32 exec_lo, exec_lo, s21
	;;#ASMSTART
	s_wakeup
	;;#ASMEND
.LBB6_504:                              ;   in Loop: Header=BB6_458 Depth=1
	s_or_b32 exec_lo, exec_lo, s20
.LBB6_505:                              ;   in Loop: Header=BB6_458 Depth=1
	s_and_not1_saveexec_b32 s11, s11
	s_cbranch_execz .LBB6_507
; %bb.506:                              ;   in Loop: Header=BB6_458 Depth=1
	s_waitcnt lgkmcnt(0)
	s_waitcnt_vscnt null, 0x0
	buffer_gl1_inv
	buffer_gl0_inv
	s_barrier
.LBB6_507:                              ;   in Loop: Header=BB6_458 Depth=1
	s_or_b32 exec_lo, exec_lo, s11
.LBB6_508:                              ;   in Loop: Header=BB6_458 Depth=1
	s_delay_alu instid0(SALU_CYCLE_1)
	s_or_b32 exec_lo, exec_lo, s10
	s_cbranch_execnz .LBB6_723
; %bb.509:                              ;   in Loop: Header=BB6_458 Depth=1
	ds_load_b32 v32, v0
	v_and_b32_e32 v25, 0x4000, v38
	s_delay_alu instid0(VALU_DEP_1) | instskip(SKIP_1) | instid1(SALU_CYCLE_1)
	v_cmp_ne_u32_e32 vcc_lo, 0, v25
	s_and_b32 s11, s17, vcc_lo
	s_and_saveexec_b32 s10, s11
	s_cbranch_execz .LBB6_531
; %bb.510:                              ;   in Loop: Header=BB6_458 Depth=1
	s_and_saveexec_b32 s11, s3
	s_delay_alu instid0(SALU_CYCLE_1)
	s_xor_b32 s11, exec_lo, s11
	s_cbranch_execz .LBB6_528
; %bb.511:                              ;   in Loop: Header=BB6_458 Depth=1
	s_and_saveexec_b32 s20, s4
	s_cbranch_execz .LBB6_527
; %bb.512:                              ;   in Loop: Header=BB6_458 Depth=1
	s_mov_b32 s22, exec_lo
	s_mov_b32 s21, exec_lo
	v_mbcnt_lo_u32_b32 v25, s22, 0
	s_waitcnt lgkmcnt(0)
	s_waitcnt_vscnt null, 0x0
	buffer_gl1_inv
	buffer_gl0_inv
	v_cmpx_eq_u32_e32 0, v25
	s_cbranch_execz .LBB6_514
; %bb.513:                              ;   in Loop: Header=BB6_458 Depth=1
	s_bcnt1_i32_b32 s22, s22
	s_delay_alu instid0(SALU_CYCLE_1)
	v_mov_b32_e32 v25, s22
	ds_add_u64 v0, v[25:26]
	s_cbranch_execnz .LBB6_812
.LBB6_514:                              ;   in Loop: Header=BB6_458 Depth=1
	s_or_b32 exec_lo, exec_lo, s21
	s_cbranch_execnz .LBB6_800
; %bb.515:                              ;   in Loop: Header=BB6_458 Depth=1
	ds_load_b64 v[33:34], v0
	v_add_co_u32 v10, vcc_lo, v10, v50
	v_add_co_ci_u32_e32 v11, vcc_lo, 0, v11, vcc_lo
	s_mov_b32 s21, exec_lo
	s_waitcnt lgkmcnt(0)
	s_delay_alu instid0(VALU_DEP_1)
	v_cmpx_lt_u64_e64 v[33:34], v[10:11]
	s_cbranch_execz .LBB6_526
; %bb.516:                              ;   in Loop: Header=BB6_458 Depth=1
	s_mov_b32 s22, 0
	s_mov_b32 s25, 0
                                        ; implicit-def: $sgpr23
                                        ; implicit-def: $sgpr24
	s_branch .LBB6_518
.LBB6_517:                              ;   in Loop: Header=BB6_518 Depth=2
	s_or_b32 exec_lo, exec_lo, s28
	s_delay_alu instid0(SALU_CYCLE_1) | instskip(NEXT) | instid1(SALU_CYCLE_1)
	s_and_b32 s26, exec_lo, s27
	s_or_b32 s22, s26, s22
	s_and_not1_b32 s23, s23, exec_lo
	s_and_b32 s26, s24, exec_lo
	s_delay_alu instid0(SALU_CYCLE_1)
	s_or_b32 s23, s23, s26
	s_and_not1_b32 exec_lo, exec_lo, s22
	s_cbranch_execz .LBB6_524
.LBB6_518:                              ;   Parent Loop BB6_458 Depth=1
                                        ; =>  This Inner Loop Header: Depth=2
	s_add_i32 s25, s25, 1
                                        ; implicit-def: $sgpr27
	s_delay_alu instid0(SALU_CYCLE_1) | instskip(SKIP_1) | instid1(SALU_CYCLE_1)
	s_cmpk_lg_i32 s25, 0x2710
	s_cselect_b32 s26, -1, 0
	s_and_b32 vcc_lo, exec_lo, s26
	s_cbranch_vccz .LBB6_522
.LBB6_519:                              ;   in Loop: Header=BB6_518 Depth=2
	s_and_not1_b32 s24, s24, exec_lo
	s_and_b32 s28, s27, exec_lo
	s_mov_b32 s27, -1
	s_or_b32 s24, s24, s28
	s_and_saveexec_b32 s28, s26
	s_cbranch_execz .LBB6_517
; %bb.520:                              ;   in Loop: Header=BB6_518 Depth=2
	s_sleep 1
	s_cbranch_execnz .LBB6_844
; %bb.521:                              ;   in Loop: Header=BB6_518 Depth=2
	ds_load_b64 v[33:34], v0
	s_and_not1_b32 s24, s24, exec_lo
	s_waitcnt lgkmcnt(0)
	v_cmp_ge_u64_e32 vcc_lo, v[33:34], v[10:11]
	s_or_not1_b32 s27, vcc_lo, exec_lo
	s_branch .LBB6_517
.LBB6_522:                              ;   in Loop: Header=BB6_518 Depth=2
	s_cbranch_execnz .LBB6_858
; %bb.523:                              ;   in Loop: Header=BB6_518 Depth=2
	ds_load_b64 v[33:34], v0
	s_and_not1_b32 s26, s26, exec_lo
	s_mov_b32 s25, 0
	s_mov_b32 s27, -1
	s_waitcnt lgkmcnt(0)
	flat_load_b32 v25, v[33:34] glc
	s_waitcnt vmcnt(0) lgkmcnt(0)
	buffer_gl1_inv
	buffer_gl0_inv
	v_cmp_eq_u32_e32 vcc_lo, 0, v25
	s_and_b32 s28, vcc_lo, exec_lo
	s_delay_alu instid0(SALU_CYCLE_1)
	s_or_b32 s26, s26, s28
	s_branch .LBB6_519
.LBB6_524:                              ;   in Loop: Header=BB6_458 Depth=1
	s_or_b32 exec_lo, exec_lo, s22
	s_and_saveexec_b32 s22, s23
	s_delay_alu instid0(SALU_CYCLE_1)
	s_xor_b32 s22, exec_lo, s22
	s_cbranch_execz .LBB6_526
; %bb.525:                              ;   in Loop: Header=BB6_458 Depth=1
	ds_store_b32 v0, v81
	s_cbranch_execnz .LBB6_930
.LBB6_526:                              ;   in Loop: Header=BB6_458 Depth=1
	s_or_b32 exec_lo, exec_lo, s21
	;;#ASMSTART
	s_wakeup
	;;#ASMEND
.LBB6_527:                              ;   in Loop: Header=BB6_458 Depth=1
	s_or_b32 exec_lo, exec_lo, s20
.LBB6_528:                              ;   in Loop: Header=BB6_458 Depth=1
	s_and_not1_saveexec_b32 s11, s11
	s_cbranch_execz .LBB6_530
; %bb.529:                              ;   in Loop: Header=BB6_458 Depth=1
	s_waitcnt lgkmcnt(0)
	s_waitcnt_vscnt null, 0x0
	buffer_gl1_inv
	buffer_gl0_inv
	s_barrier
.LBB6_530:                              ;   in Loop: Header=BB6_458 Depth=1
	s_or_b32 exec_lo, exec_lo, s11
.LBB6_531:                              ;   in Loop: Header=BB6_458 Depth=1
	s_delay_alu instid0(SALU_CYCLE_1)
	s_or_b32 exec_lo, exec_lo, s10
	s_cbranch_execnz .LBB6_739
; %bb.532:                              ;   in Loop: Header=BB6_458 Depth=1
	s_waitcnt lgkmcnt(1)
	ds_load_b64 v[33:34], v0
	s_waitcnt lgkmcnt(0)
	v_cmp_eq_u64_e32 vcc_lo, 0, v[33:34]
	s_or_b32 s10, vcc_lo, vcc_lo
	s_delay_alu instid0(SALU_CYCLE_1)
	s_and_b32 vcc_lo, exec_lo, s10
	s_mov_b32 s10, 0
	s_cbranch_vccnz .LBB6_566
; %bb.533:                              ;   in Loop: Header=BB6_458 Depth=1
	s_mov_b32 s10, -1
	s_and_saveexec_b32 s11, s5
	s_cbranch_execz .LBB6_535
; %bb.534:                              ;   in Loop: Header=BB6_458 Depth=1
	ds_load_b32 v25, v0 offset:720
	s_waitcnt lgkmcnt(0)
	v_and_b32_e32 v25, 15, v25
	s_delay_alu instid0(VALU_DEP_1)
	v_cmp_eq_u32_e32 vcc_lo, 0, v25
	s_or_not1_b32 s10, vcc_lo, exec_lo
.LBB6_535:                              ;   in Loop: Header=BB6_458 Depth=1
	s_or_b32 exec_lo, exec_lo, s11
	s_and_saveexec_b32 s11, s6
	s_cbranch_execz .LBB6_537
; %bb.536:                              ;   in Loop: Header=BB6_458 Depth=1
	ds_load_b32 v25, v0 offset:784
	s_waitcnt lgkmcnt(0)
	v_and_b32_e32 v25, 15, v25
	s_delay_alu instid0(VALU_DEP_1) | instskip(SKIP_3) | instid1(SALU_CYCLE_1)
	v_cmp_eq_u32_e32 vcc_lo, 0, v25
	s_and_b32 s20, s10, vcc_lo
	s_and_not1_b32 s10, s10, exec_lo
	s_and_b32 s20, s20, exec_lo
	s_or_b32 s10, s10, s20
.LBB6_537:                              ;   in Loop: Header=BB6_458 Depth=1
	s_or_b32 exec_lo, exec_lo, s11
	v_cmp_eq_u32_e32 vcc_lo, 0, v32
	s_xor_b32 s10, s10, -1
	v_mov_b32_e32 v82, 0
	v_cndmask_b32_e64 v33, 0, 1, s10
	;;#ASMSTART
	;;#ASMEND
	v_cndmask_b32_e32 v25, 0, v36, vcc_lo
	s_delay_alu instid0(VALU_DEP_2) | instskip(SKIP_1) | instid1(VALU_DEP_2)
	v_cmp_ne_u32_e32 vcc_lo, 0, v33
	s_mov_b32 s10, -1
	v_lshlrev_b32_e32 v37, 2, v25
	s_cbranch_vccz .LBB6_539
; %bb.538:                              ;   in Loop: Header=BB6_458 Depth=1
	v_mov_b32_e32 v83, v0
	v_mov_b32_e32 v87, v51
	s_branch .LBB6_554
.LBB6_539:                              ;   in Loop: Header=BB6_458 Depth=1
	v_lshrrev_b32_e32 v82, 10, v25
	s_mov_b32 s10, exec_lo
	s_delay_alu instid0(VALU_DEP_1) | instskip(NEXT) | instid1(VALU_DEP_1)
	v_sub_nc_u32_e32 v84, v82, v51
	v_cmpx_lt_i32_e32 0, v84
	s_cbranch_execz .LBB6_544
; %bb.540:                              ;   in Loop: Header=BB6_458 Depth=1
	s_cbranch_execnz .LBB6_828
; %bb.541:                              ;   in Loop: Header=BB6_458 Depth=1
	ds_load_b64 v[32:33], v0
	s_mov_b32 s11, 0
	s_waitcnt lgkmcnt(0)
	v_dual_mov_b32 v35, v33 :: v_dual_mov_b32 v34, v32
.LBB6_542:                              ;   Parent Loop BB6_458 Depth=1
                                        ; =>  This Inner Loop Header: Depth=2
	s_delay_alu instid0(VALU_DEP_1) | instskip(NEXT) | instid1(VALU_DEP_2)
	v_add_co_u32 v85, vcc_lo, v54, v34
	v_add_co_ci_u32_e32 v86, vcc_lo, v65, v35, vcc_lo
	v_sub_nc_u32_e32 v84, v84, v50
	s_clause 0x7
	global_load_b128 v[96:99], v[85:86], off slc dlc
	global_load_b128 v[100:103], v[85:86], off offset:512 slc dlc
	global_load_b128 v[112:115], v[85:86], off offset:1024 slc dlc
	;; [unrolled: 1-line block ×7, first 2 shown]
	v_add_co_u32 v85, vcc_lo, v54, v32
	v_add_co_ci_u32_e32 v86, vcc_lo, v65, v33, vcc_lo
	v_add_co_u32 v34, vcc_lo, v34, v55
	v_add_co_ci_u32_e32 v35, vcc_lo, v35, v64, vcc_lo
	;; [unrolled: 2-line block ×3, first 2 shown]
	v_cmp_gt_i32_e32 vcc_lo, 1, v84
	s_waitcnt vmcnt(7)
	global_store_b128 v[85:86], v[96:99], off glc slc dlc
	s_waitcnt vmcnt(6)
	global_store_b128 v[85:86], v[100:103], off offset:512 glc slc dlc
	s_waitcnt vmcnt(5)
	global_store_b128 v[85:86], v[112:115], off offset:1024 glc slc dlc
	;; [unrolled: 2-line block ×7, first 2 shown]
	s_or_b32 s11, vcc_lo, s11
	s_delay_alu instid0(SALU_CYCLE_1)
	s_and_not1_b32 exec_lo, exec_lo, s11
	s_cbranch_execnz .LBB6_542
; %bb.543:                              ;   in Loop: Header=BB6_458 Depth=1
	s_or_b32 exec_lo, exec_lo, s11
.LBB6_544:                              ;   in Loop: Header=BB6_458 Depth=1
	s_delay_alu instid0(SALU_CYCLE_1) | instskip(SKIP_4) | instid1(VALU_DEP_2)
	s_or_b32 exec_lo, exec_lo, s10
	v_lshlrev_b32_e32 v34, 12, v82
	v_mov_b32_e32 v82, 0
	s_mov_b32 s10, 0
	s_mov_b32 s20, exec_lo
                                        ; implicit-def: $vgpr83
                                        ; implicit-def: $vgpr87
	v_cmpx_ne_u32_e64 v37, v34
	s_cbranch_execz .LBB6_553
; %bb.545:                              ;   in Loop: Header=BB6_458 Depth=1
	v_lshlrev_b32_e32 v32, 5, v84
	v_sub_nc_u32_e32 v82, v37, v34
	s_mov_b32 s21, exec_lo
	s_delay_alu instid0(VALU_DEP_2) | instskip(NEXT) | instid1(VALU_DEP_2)
	v_sub_nc_u32_e32 v32, v53, v32
	v_ashrrev_i32_e32 v35, 31, v82
	s_delay_alu instid0(VALU_DEP_2) | instskip(NEXT) | instid1(VALU_DEP_2)
	v_ashrrev_i32_e32 v33, 31, v32
	v_lshrrev_b32_e32 v35, 23, v35
	s_delay_alu instid0(VALU_DEP_2) | instskip(NEXT) | instid1(VALU_DEP_2)
	v_lshrrev_b32_e32 v33, 27, v33
	v_add_nc_u32_e32 v86, v82, v35
	s_delay_alu instid0(VALU_DEP_2) | instskip(NEXT) | instid1(VALU_DEP_2)
	v_add_nc_u32_e32 v33, v32, v33
	v_and_b32_e32 v35, 0xfffffe00, v86
	v_ashrrev_i32_e32 v86, 9, v86
	s_delay_alu instid0(VALU_DEP_3) | instskip(NEXT) | instid1(VALU_DEP_3)
	v_and_b32_e32 v83, 0xffffffe0, v33
	v_sub_nc_u32_e32 v85, v82, v35
	s_delay_alu instid0(VALU_DEP_2) | instskip(SKIP_1) | instid1(VALU_DEP_3)
	v_sub_nc_u32_e32 v84, v32, v83
	v_ashrrev_i32_e32 v32, 5, v33
	v_cmp_lt_i32_e32 vcc_lo, 15, v85
	s_delay_alu instid0(VALU_DEP_3) | instskip(NEXT) | instid1(VALU_DEP_1)
	v_lshlrev_b32_e32 v33, 4, v84
	v_lshl_add_u32 v83, v32, 9, v33
	v_add_co_ci_u32_e64 v33, s10, 0, v86, vcc_lo
	s_delay_alu instid0(VALU_DEP_2) | instskip(NEXT) | instid1(VALU_DEP_2)
	v_sub_nc_u32_e32 v82, v82, v83
	v_sub_nc_u32_e32 v86, v33, v32
	s_delay_alu instid0(VALU_DEP_2)
	v_cmpx_lt_i32_e32 15, v82
	s_cbranch_execz .LBB6_550
; %bb.546:                              ;   in Loop: Header=BB6_458 Depth=1
	s_cbranch_execnz .LBB6_882
; %bb.547:                              ;   in Loop: Header=BB6_458 Depth=1
	ds_load_b64 v[32:33], v0
	v_add_nc_u32_e32 v83, v83, v34
	s_mov_b32 s22, 0
	s_delay_alu instid0(VALU_DEP_1)
	v_ashrrev_i32_e32 v87, 31, v83
.LBB6_548:                              ;   Parent Loop BB6_458 Depth=1
                                        ; =>  This Inner Loop Header: Depth=2
	s_waitcnt lgkmcnt(0)
	v_add_co_u32 v100, s10, v32, v83
	s_delay_alu instid0(VALU_DEP_1)
	v_add_co_ci_u32_e64 v101, s10, v33, v87, s10
	v_sub_nc_u32_e32 v82, v82, v52
	v_add_co_u32 v83, s11, v83, v67
	global_load_b128 v[96:99], v[100:101], off slc dlc
	v_sub_nc_u32_e32 v86, v86, v50
	v_cmp_gt_i32_e64 s10, 16, v82
	v_add_co_ci_u32_e64 v87, s11, v87, v68, s11
	s_delay_alu instid0(VALU_DEP_2)
	s_or_b32 s22, s10, s22
	s_waitcnt vmcnt(0)
	global_store_b128 v[100:101], v[96:99], off glc slc dlc
	s_and_not1_b32 exec_lo, exec_lo, s22
	s_cbranch_execnz .LBB6_548
; %bb.549:                              ;   in Loop: Header=BB6_458 Depth=1
	s_or_b32 exec_lo, exec_lo, s22
.LBB6_550:                              ;   in Loop: Header=BB6_458 Depth=1
	s_delay_alu instid0(SALU_CYCLE_1) | instskip(SKIP_3) | instid1(VALU_DEP_1)
	s_or_b32 exec_lo, exec_lo, s21
	v_and_b32_e32 v32, 12, v37
	s_mov_b32 s11, 0
	s_mov_b32 s21, exec_lo
                                        ; implicit-def: $vgpr83
                                        ; implicit-def: $vgpr87
	v_dual_mov_b32 v82, 0 :: v_dual_cndmask_b32 v37, v85, v32
	s_delay_alu instid0(VALU_DEP_1)
	v_cmpx_ne_u32_e32 0, v37
; %bb.551:                              ;   in Loop: Header=BB6_458 Depth=1
	v_cmp_lt_i32_e64 s10, 0, v86
	v_sub_nc_u32_e32 v32, v85, v32
	s_mov_b32 s11, exec_lo
	s_delay_alu instid0(VALU_DEP_2) | instskip(NEXT) | instid1(VALU_DEP_1)
	v_cndmask_b32_e64 v33, 0, v50, s10
	v_sub_nc_u32_e32 v33, v33, v86
	s_delay_alu instid0(VALU_DEP_1) | instskip(NEXT) | instid1(VALU_DEP_1)
	v_lshl_add_u32 v83, v33, 5, v84
	v_ashrrev_i32_e32 v33, 31, v83
	s_delay_alu instid0(VALU_DEP_1) | instskip(NEXT) | instid1(VALU_DEP_1)
	v_lshrrev_b32_e32 v33, 27, v33
	v_dual_cndmask_b32 v32, 0, v32 :: v_dual_add_nc_u32 v33, v83, v33
	s_delay_alu instid0(VALU_DEP_1) | instskip(NEXT) | instid1(VALU_DEP_2)
	v_add3_u32 v82, v35, v34, v32
	v_ashrrev_i32_e32 v87, 5, v33
; %bb.552:                              ;   in Loop: Header=BB6_458 Depth=1
	s_or_b32 exec_lo, exec_lo, s21
	s_delay_alu instid0(SALU_CYCLE_1)
	s_and_b32 s10, s11, exec_lo
.LBB6_553:                              ;   in Loop: Header=BB6_458 Depth=1
	s_or_b32 exec_lo, exec_lo, s20
.LBB6_554:                              ;   in Loop: Header=BB6_458 Depth=1
	s_and_saveexec_b32 s11, s10
	s_cbranch_execz .LBB6_565
; %bb.555:                              ;   in Loop: Header=BB6_458 Depth=1
	v_ashrrev_i32_e32 v32, 31, v37
	s_mov_b32 s10, exec_lo
	s_delay_alu instid0(VALU_DEP_1) | instskip(NEXT) | instid1(VALU_DEP_1)
	v_lshrrev_b32_e32 v32, 22, v32
	v_add_nc_u32_e32 v32, v37, v32
	s_delay_alu instid0(VALU_DEP_1) | instskip(NEXT) | instid1(VALU_DEP_1)
	v_ashrrev_i32_e32 v85, 10, v32
	v_sub_nc_u32_e32 v84, v85, v87
	s_delay_alu instid0(VALU_DEP_1)
	v_cmpx_lt_i32_e32 0, v84
	s_cbranch_execz .LBB6_560
; %bb.556:                              ;   in Loop: Header=BB6_458 Depth=1
	s_cbranch_execnz .LBB6_816
; %bb.557:                              ;   in Loop: Header=BB6_458 Depth=1
	v_ashrrev_i32_e32 v32, 31, v83
	s_mov_b32 s20, 0
	s_delay_alu instid0(VALU_DEP_1) | instskip(NEXT) | instid1(VALU_DEP_1)
	v_lshrrev_b32_e32 v32, 27, v32
	v_add_nc_u32_e32 v32, v83, v32
	s_delay_alu instid0(VALU_DEP_1) | instskip(SKIP_3) | instid1(VALU_DEP_1)
	v_and_b32_e32 v34, 0x3fffffe0, v32
	ds_load_b64 v[32:33], v0
	v_lshlrev_b32_e32 v35, 10, v87
	v_sub_nc_u32_e32 v34, v83, v34
	v_lshlrev_b32_e32 v34, 2, v34
	s_delay_alu instid0(VALU_DEP_1) | instskip(NEXT) | instid1(VALU_DEP_1)
	v_add3_u32 v86, v34, v82, v35
	v_ashrrev_i32_e32 v87, 31, v86
	s_waitcnt lgkmcnt(0)
	v_dual_mov_b32 v35, v33 :: v_dual_mov_b32 v34, v32
.LBB6_558:                              ;   Parent Loop BB6_458 Depth=1
                                        ; =>  This Inner Loop Header: Depth=2
	s_delay_alu instid0(VALU_DEP_1) | instskip(NEXT) | instid1(VALU_DEP_2)
	v_add_co_u32 v96, vcc_lo, v86, v34
	v_add_co_ci_u32_e32 v97, vcc_lo, v87, v35, vcc_lo
	v_sub_nc_u32_e32 v84, v84, v50
	s_clause 0x7
	flat_load_b32 v98, v[96:97] slc dlc
	flat_load_b32 v99, v[96:97] offset:128 slc dlc
	flat_load_b32 v100, v[96:97] offset:256 slc dlc
	;; [unrolled: 1-line block ×7, first 2 shown]
	v_add_co_u32 v96, vcc_lo, v86, v32
	v_add_co_ci_u32_e32 v97, vcc_lo, v87, v33, vcc_lo
	v_add_co_u32 v34, vcc_lo, v34, v69
	v_add_co_ci_u32_e32 v35, vcc_lo, v35, v70, vcc_lo
	;; [unrolled: 2-line block ×3, first 2 shown]
	v_cmp_gt_i32_e32 vcc_lo, 1, v84
	s_waitcnt vmcnt(7) lgkmcnt(7)
	flat_store_b32 v[96:97], v98 glc slc dlc
	s_waitcnt vmcnt(6) lgkmcnt(7)
	flat_store_b32 v[96:97], v99 offset:128 glc slc dlc
	s_waitcnt vmcnt(5) lgkmcnt(7)
	flat_store_b32 v[96:97], v100 offset:256 glc slc dlc
	;; [unrolled: 2-line block ×7, first 2 shown]
	s_or_b32 s20, vcc_lo, s20
	s_delay_alu instid0(SALU_CYCLE_1)
	s_and_not1_b32 exec_lo, exec_lo, s20
	s_cbranch_execnz .LBB6_558
; %bb.559:                              ;   in Loop: Header=BB6_458 Depth=1
	s_or_b32 exec_lo, exec_lo, s20
.LBB6_560:                              ;   in Loop: Header=BB6_458 Depth=1
	s_delay_alu instid0(SALU_CYCLE_1) | instskip(SKIP_1) | instid1(VALU_DEP_1)
	s_or_b32 exec_lo, exec_lo, s10
	v_lshlrev_b32_e32 v32, 10, v85
	v_cmp_ne_u32_e32 vcc_lo, v37, v32
	s_and_b32 exec_lo, exec_lo, vcc_lo
	s_cbranch_execz .LBB6_565
; %bb.561:                              ;   in Loop: Header=BB6_458 Depth=1
	v_ashrrev_i32_e32 v33, 31, v83
	v_lshlrev_b32_e32 v34, 5, v84
	s_delay_alu instid0(VALU_DEP_2) | instskip(NEXT) | instid1(VALU_DEP_1)
	v_lshrrev_b32_e32 v33, 27, v33
	v_add_nc_u32_e32 v33, v83, v33
	s_delay_alu instid0(VALU_DEP_1) | instskip(NEXT) | instid1(VALU_DEP_1)
	v_and_b32_e32 v33, 0xffffffe0, v33
	v_sub_nc_u32_e32 v33, v83, v33
	s_delay_alu instid0(VALU_DEP_1) | instskip(NEXT) | instid1(VALU_DEP_1)
	v_sub_nc_u32_e32 v33, v33, v34
	v_ashrrev_i32_e32 v34, 31, v33
	s_delay_alu instid0(VALU_DEP_1) | instskip(NEXT) | instid1(VALU_DEP_1)
	v_lshrrev_b32_e32 v34, 27, v34
	v_add_nc_u32_e32 v34, v33, v34
	s_delay_alu instid0(VALU_DEP_1) | instskip(SKIP_1) | instid1(VALU_DEP_2)
	v_and_b32_e32 v35, 0x3fffffe0, v34
	v_lshlrev_b32_e32 v34, 2, v34
	v_sub_nc_u32_e32 v33, v33, v35
	s_delay_alu instid0(VALU_DEP_2) | instskip(NEXT) | instid1(VALU_DEP_2)
	v_and_b32_e32 v34, 0xffffff80, v34
	v_lshlrev_b32_e32 v33, 2, v33
	s_delay_alu instid0(VALU_DEP_1) | instskip(NEXT) | instid1(VALU_DEP_1)
	v_add3_u32 v35, v34, v33, v32
	v_sub_nc_u32_e32 v34, v37, v35
	s_delay_alu instid0(VALU_DEP_1)
	v_cmp_lt_i32_e32 vcc_lo, 3, v34
	s_and_b32 exec_lo, exec_lo, vcc_lo
	s_cbranch_execz .LBB6_565
; %bb.562:                              ;   in Loop: Header=BB6_458 Depth=1
	s_cbranch_execnz .LBB6_864
; %bb.563:                              ;   in Loop: Header=BB6_458 Depth=1
	ds_load_b64 v[32:33], v0
	v_add_nc_u32_e32 v35, v35, v82
	s_mov_b32 s20, 0
	s_delay_alu instid0(VALU_DEP_1)
	v_ashrrev_i32_e32 v37, 31, v35
.LBB6_564:                              ;   Parent Loop BB6_458 Depth=1
                                        ; =>  This Inner Loop Header: Depth=2
	s_waitcnt lgkmcnt(0)
	v_add_co_u32 v82, vcc_lo, v32, v35
	s_delay_alu instid0(VALU_DEP_2)
	v_add_co_ci_u32_e32 v83, vcc_lo, v33, v37, vcc_lo
	v_sub_nc_u32_e32 v34, v34, v66
	v_add_co_u32 v35, s10, v35, v71
	flat_load_b32 v84, v[82:83] slc dlc
	v_add_co_ci_u32_e64 v37, s10, v37, v80, s10
	v_cmp_gt_i32_e32 vcc_lo, 4, v34
	s_or_b32 s20, vcc_lo, s20
	s_waitcnt vmcnt(0) lgkmcnt(0)
	flat_store_b32 v[82:83], v84 glc slc dlc
	s_and_not1_b32 exec_lo, exec_lo, s20
	s_cbranch_execnz .LBB6_564
.LBB6_565:                              ;   in Loop: Header=BB6_458 Depth=1
	s_or_b32 exec_lo, exec_lo, s11
	v_cmp_ne_u32_e64 s10, 0, v25
.LBB6_566:                              ;   in Loop: Header=BB6_458 Depth=1
	s_and_saveexec_b32 s11, s2
	s_cbranch_execz .LBB6_588
; %bb.567:                              ;   in Loop: Header=BB6_458 Depth=1
	s_and_saveexec_b32 s20, s3
	s_delay_alu instid0(SALU_CYCLE_1)
	s_xor_b32 s20, exec_lo, s20
	s_cbranch_execz .LBB6_585
; %bb.568:                              ;   in Loop: Header=BB6_458 Depth=1
	s_and_saveexec_b32 s21, s4
	s_cbranch_execz .LBB6_584
; %bb.569:                              ;   in Loop: Header=BB6_458 Depth=1
	s_mov_b32 s23, exec_lo
	s_mov_b32 s22, exec_lo
	v_mbcnt_lo_u32_b32 v25, s23, 0
	s_waitcnt lgkmcnt(0)
	s_waitcnt_vscnt null, 0x0
	buffer_gl1_inv
	buffer_gl0_inv
	v_cmpx_eq_u32_e32 0, v25
	s_cbranch_execz .LBB6_571
; %bb.570:                              ;   in Loop: Header=BB6_458 Depth=1
	s_bcnt1_i32_b32 s23, s23
	s_delay_alu instid0(SALU_CYCLE_1)
	v_mov_b32_e32 v25, s23
	ds_add_u64 v0, v[25:26]
	s_cbranch_execnz .LBB6_846
.LBB6_571:                              ;   in Loop: Header=BB6_458 Depth=1
	s_or_b32 exec_lo, exec_lo, s22
	s_cbranch_execnz .LBB6_832
; %bb.572:                              ;   in Loop: Header=BB6_458 Depth=1
	ds_load_b64 v[32:33], v0
	v_add_co_u32 v10, vcc_lo, v10, v50
	v_add_co_ci_u32_e32 v11, vcc_lo, 0, v11, vcc_lo
	s_mov_b32 s22, exec_lo
	s_waitcnt lgkmcnt(0)
	s_delay_alu instid0(VALU_DEP_1)
	v_cmpx_lt_u64_e64 v[32:33], v[10:11]
	s_cbranch_execz .LBB6_583
; %bb.573:                              ;   in Loop: Header=BB6_458 Depth=1
	s_mov_b32 s23, 0
	s_mov_b32 s26, 0
                                        ; implicit-def: $sgpr24
                                        ; implicit-def: $sgpr25
	s_branch .LBB6_575
.LBB6_574:                              ;   in Loop: Header=BB6_575 Depth=2
	s_or_b32 exec_lo, exec_lo, s29
	s_delay_alu instid0(SALU_CYCLE_1) | instskip(NEXT) | instid1(SALU_CYCLE_1)
	s_and_b32 s27, exec_lo, s28
	s_or_b32 s23, s27, s23
	s_and_not1_b32 s24, s24, exec_lo
	s_and_b32 s27, s25, exec_lo
	s_delay_alu instid0(SALU_CYCLE_1)
	s_or_b32 s24, s24, s27
	s_and_not1_b32 exec_lo, exec_lo, s23
	s_cbranch_execz .LBB6_581
.LBB6_575:                              ;   Parent Loop BB6_458 Depth=1
                                        ; =>  This Inner Loop Header: Depth=2
	s_add_i32 s26, s26, 1
                                        ; implicit-def: $sgpr28
	s_delay_alu instid0(SALU_CYCLE_1) | instskip(SKIP_1) | instid1(SALU_CYCLE_1)
	s_cmpk_lg_i32 s26, 0x2710
	s_cselect_b32 s27, -1, 0
	s_and_b32 vcc_lo, exec_lo, s27
	s_cbranch_vccz .LBB6_579
.LBB6_576:                              ;   in Loop: Header=BB6_575 Depth=2
	s_and_not1_b32 s25, s25, exec_lo
	s_and_b32 s29, s28, exec_lo
	s_mov_b32 s28, -1
	s_or_b32 s25, s25, s29
	s_and_saveexec_b32 s29, s27
	s_cbranch_execz .LBB6_574
; %bb.577:                              ;   in Loop: Header=BB6_575 Depth=2
	s_sleep 1
	s_cbranch_execnz .LBB6_896
; %bb.578:                              ;   in Loop: Header=BB6_575 Depth=2
	ds_load_b64 v[32:33], v0
	s_and_not1_b32 s25, s25, exec_lo
	s_waitcnt lgkmcnt(0)
	v_cmp_ge_u64_e32 vcc_lo, v[32:33], v[10:11]
	s_or_not1_b32 s28, vcc_lo, exec_lo
	s_branch .LBB6_574
.LBB6_579:                              ;   in Loop: Header=BB6_575 Depth=2
	s_cbranch_execnz .LBB6_906
; %bb.580:                              ;   in Loop: Header=BB6_575 Depth=2
	ds_load_b64 v[32:33], v0
	s_and_not1_b32 s27, s27, exec_lo
	s_mov_b32 s26, 0
	s_mov_b32 s28, -1
	s_waitcnt lgkmcnt(0)
	flat_load_b32 v25, v[32:33] glc
	s_waitcnt vmcnt(0) lgkmcnt(0)
	buffer_gl1_inv
	buffer_gl0_inv
	v_cmp_eq_u32_e32 vcc_lo, 0, v25
	s_and_b32 s29, vcc_lo, exec_lo
	s_delay_alu instid0(SALU_CYCLE_1)
	s_or_b32 s27, s27, s29
	s_branch .LBB6_576
.LBB6_581:                              ;   in Loop: Header=BB6_458 Depth=1
	s_or_b32 exec_lo, exec_lo, s23
	s_and_saveexec_b32 s23, s24
	s_delay_alu instid0(SALU_CYCLE_1)
	s_xor_b32 s23, exec_lo, s23
	s_cbranch_execz .LBB6_583
; %bb.582:                              ;   in Loop: Header=BB6_458 Depth=1
	ds_store_b32 v0, v81
	s_cbranch_execnz .LBB6_940
.LBB6_583:                              ;   in Loop: Header=BB6_458 Depth=1
	s_or_b32 exec_lo, exec_lo, s22
	;;#ASMSTART
	s_wakeup
	;;#ASMEND
.LBB6_584:                              ;   in Loop: Header=BB6_458 Depth=1
	s_or_b32 exec_lo, exec_lo, s21
.LBB6_585:                              ;   in Loop: Header=BB6_458 Depth=1
	s_and_not1_saveexec_b32 s20, s20
	s_cbranch_execz .LBB6_587
; %bb.586:                              ;   in Loop: Header=BB6_458 Depth=1
	s_waitcnt lgkmcnt(0)
	s_waitcnt_vscnt null, 0x0
	buffer_gl1_inv
	buffer_gl0_inv
	s_barrier
.LBB6_587:                              ;   in Loop: Header=BB6_458 Depth=1
	s_or_b32 exec_lo, exec_lo, s20
.LBB6_588:                              ;   in Loop: Header=BB6_458 Depth=1
	s_delay_alu instid0(SALU_CYCLE_1) | instskip(SKIP_1) | instid1(VALU_DEP_1)
	s_or_b32 exec_lo, exec_lo, s11
	v_and_b32_e32 v25, 16, v38
	v_cmp_ne_u32_e32 vcc_lo, 0, v25
	s_and_b32 s11, vcc_lo, s10
	s_delay_alu instid0(SALU_CYCLE_1)
	s_and_saveexec_b32 s10, s11
	s_cbranch_execz .LBB6_590
; %bb.589:                              ;   in Loop: Header=BB6_458 Depth=1
	s_waitcnt lgkmcnt(0)
	s_waitcnt_vscnt null, 0x0
	buffer_gl1_inv
	buffer_gl0_inv
.LBB6_590:                              ;   in Loop: Header=BB6_458 Depth=1
	s_or_b32 exec_lo, exec_lo, s10
	s_delay_alu instid0(SALU_CYCLE_1)
	s_mov_b32 s10, exec_lo
	v_cmpx_ne_u32_e32 0, v25
	s_cbranch_execz .LBB6_594
; %bb.591:                              ;   in Loop: Header=BB6_458 Depth=1
	s_and_saveexec_b32 s11, s7
	s_cbranch_execz .LBB6_593
; %bb.592:                              ;   in Loop: Header=BB6_458 Depth=1
	s_waitcnt lgkmcnt(0)
	s_waitcnt_vscnt null, 0x0
	flat_store_b32 v[22:23], v81
.LBB6_593:                              ;   in Loop: Header=BB6_458 Depth=1
	s_or_b32 exec_lo, exec_lo, s11
	v_add_co_u32 v8, vcc_lo, v8, 1
	v_add_co_ci_u32_e32 v9, vcc_lo, 0, v9, vcc_lo
	s_waitcnt lgkmcnt(0)
	s_waitcnt_vscnt null, 0x0
	flat_store_b64 v[16:17], v[8:9]
.LBB6_594:                              ;   in Loop: Header=BB6_458 Depth=1
	s_or_b32 exec_lo, exec_lo, s10
	v_mov_b32_e32 v25, v36
.LBB6_595:                              ;   in Loop: Header=BB6_458 Depth=1
	s_or_b32 exec_lo, exec_lo, s19
	s_and_saveexec_b32 s11, s18
	s_cbranch_execz .LBB6_652
; %bb.596:                              ;   in Loop: Header=BB6_458 Depth=1
	v_and_b32_e32 v32, 8, v38
	s_mov_b32 s18, -1
	s_mov_b32 s10, exec_lo
	s_delay_alu instid0(VALU_DEP_1)
	v_cmpx_ne_u32_e32 0, v32
	s_cbranch_execz .LBB6_610
; %bb.597:                              ;   in Loop: Header=BB6_458 Depth=1
	s_waitcnt lgkmcnt(0)
	v_add_co_u32 v34, vcc_lo, v20, 8
	v_add_co_ci_u32_e32 v35, vcc_lo, 0, v21, vcc_lo
	v_add_co_u32 v32, vcc_lo, v8, 1
	v_add_co_ci_u32_e32 v33, vcc_lo, 0, v9, vcc_lo
	s_delay_alu instid0(VALU_DEP_1)
	v_cmp_lt_u64_e32 vcc_lo, v[34:35], v[32:33]
	v_mov_b32_e32 v34, 1
	s_and_saveexec_b32 s18, vcc_lo
	s_cbranch_execz .LBB6_609
; %bb.598:                              ;   in Loop: Header=BB6_458 Depth=1
	v_mov_b32_e32 v34, 0
	s_mov_b32 s19, 0
                                        ; implicit-def: $sgpr20
	s_branch .LBB6_602
.LBB6_599:                              ;   in Loop: Header=BB6_602 Depth=2
	s_or_b32 exec_lo, exec_lo, s24
	v_mov_b32_e32 v35, 0
	s_or_not1_b32 s23, s23, exec_lo
.LBB6_600:                              ;   in Loop: Header=BB6_602 Depth=2
	s_or_b32 exec_lo, exec_lo, s22
	s_delay_alu instid0(VALU_DEP_1) | instskip(SKIP_2) | instid1(SALU_CYCLE_1)
	v_mov_b32_e32 v34, v35
	s_and_not1_b32 s20, s20, exec_lo
	s_and_b32 s22, s23, exec_lo
	s_or_b32 s20, s20, s22
.LBB6_601:                              ;   in Loop: Header=BB6_602 Depth=2
	s_or_b32 exec_lo, exec_lo, s21
	s_waitcnt vmcnt(0) lgkmcnt(0)
	v_add_co_u32 v82, vcc_lo, v20, 8
	v_add_co_ci_u32_e32 v83, vcc_lo, 0, v21, vcc_lo
	s_xor_b32 s21, s20, -1
	s_delay_alu instid0(VALU_DEP_1) | instskip(SKIP_1) | instid1(SALU_CYCLE_1)
	v_cmp_ge_u64_e32 vcc_lo, v[82:83], v[32:33]
	s_or_b32 s21, s21, vcc_lo
	s_and_b32 s21, exec_lo, s21
	s_delay_alu instid0(SALU_CYCLE_1) | instskip(NEXT) | instid1(SALU_CYCLE_1)
	s_or_b32 s19, s21, s19
	s_and_not1_b32 exec_lo, exec_lo, s19
	s_cbranch_execz .LBB6_608
.LBB6_602:                              ;   Parent Loop BB6_458 Depth=1
                                        ; =>  This Inner Loop Header: Depth=2
	s_sleep 1
	flat_load_b64 v[20:21], v[16:17] glc
	v_and_b32_e32 v35, 64, v38
	s_and_not1_b32 s20, s20, exec_lo
	s_mov_b32 s21, exec_lo
	s_delay_alu instid0(VALU_DEP_1)
	v_cmpx_eq_u32_e32 0, v35
	s_cbranch_execz .LBB6_601
; %bb.603:                              ;   in Loop: Header=BB6_602 Depth=2
	v_add_nc_u32_e32 v35, 1, v34
	s_mov_b32 s23, -1
	s_mov_b32 s22, exec_lo
	v_cmpx_lt_i32_e32 0x270e, v34
	s_cbranch_execz .LBB6_600
; %bb.604:                              ;   in Loop: Header=BB6_602 Depth=2
	s_cbranch_execnz .LBB6_741
; %bb.605:                              ;   in Loop: Header=BB6_602 Depth=2
	ds_load_b64 v[34:35], v0
	s_mov_b32 s24, exec_lo
	s_waitcnt vmcnt(0) lgkmcnt(0)
	s_waitcnt_vscnt null, 0x0
	flat_load_b32 v34, v[34:35] glc
	s_waitcnt vmcnt(0) lgkmcnt(0)
	buffer_gl1_inv
	buffer_gl0_inv
	v_cmpx_ne_u32_e32 0, v34
	s_cbranch_execz .LBB6_599
; %bb.606:                              ;   in Loop: Header=BB6_602 Depth=2
	ds_store_b32 v0, v34
	s_cbranch_execnz .LBB6_778
; %bb.607:                              ;   in Loop: Header=BB6_602 Depth=2
	v_or_b32_e32 v38, 64, v38
	s_xor_b32 s23, exec_lo, -1
	s_branch .LBB6_599
.LBB6_608:                              ;   in Loop: Header=BB6_458 Depth=1
	s_or_b32 exec_lo, exec_lo, s19
	v_and_b32_e32 v34, 8, v38
.LBB6_609:                              ;   in Loop: Header=BB6_458 Depth=1
	s_or_b32 exec_lo, exec_lo, s18
	s_delay_alu instid0(VALU_DEP_1)
	v_cmp_eq_u32_e32 vcc_lo, 0, v34
	;;#ASMSTART
	s_wakeup
	;;#ASMEND
	s_or_not1_b32 s18, vcc_lo, exec_lo
.LBB6_610:                              ;   in Loop: Header=BB6_458 Depth=1
	s_or_b32 exec_lo, exec_lo, s10
	v_sub_nc_u32_e32 v24, v24, v25
	s_xor_b32 s18, s18, -1
	s_delay_alu instid0(VALU_DEP_1)
	v_min_i32_e32 v24, v36, v24
	s_and_saveexec_b32 s10, s18
	s_cbranch_execz .LBB6_618
; %bb.611:                              ;   in Loop: Header=BB6_458 Depth=1
	v_and_b32_e32 v25, 0x100, v38
	s_waitcnt lgkmcnt(0)
	v_and_b32_e32 v32, 7, v8
	s_mov_b32 s19, 0
	s_mov_b32 s18, exec_lo
                                        ; implicit-def: $vgpr34_vgpr35
	v_cmpx_ne_u32_e32 0, v25
	s_xor_b32 s18, exec_lo, s18
	s_cbranch_execnz .LBB6_626
; %bb.612:                              ;   in Loop: Header=BB6_458 Depth=1
	s_and_not1_saveexec_b32 s18, s18
	s_cbranch_execnz .LBB6_629
.LBB6_613:                              ;   in Loop: Header=BB6_458 Depth=1
	s_or_b32 exec_lo, exec_lo, s18
	s_and_saveexec_b32 s18, s19
.LBB6_614:                              ;   in Loop: Header=BB6_458 Depth=1
	v_mul_lo_u32 v25, v26, v48
	v_mul_lo_u32 v33, v32, v49
	v_mad_u64_u32 v[34:35], null, v32, v48, 0
	s_delay_alu instid0(VALU_DEP_1)
	v_add3_u32 v35, v35, v33, v25
.LBB6_615:                              ;   in Loop: Header=BB6_458 Depth=1
	s_or_b32 exec_lo, exec_lo, s18
	s_delay_alu instid0(VALU_DEP_1) | instskip(SKIP_2) | instid1(VALU_DEP_2)
	v_lshlrev_b64 v[32:33], 2, v[34:35]
	v_and_b32_e32 v25, 0x2000, v38
	s_mov_b32 s18, exec_lo
	v_add_co_u32 v32, vcc_lo, v18, v32
	s_delay_alu instid0(VALU_DEP_3)
	v_add_co_ci_u32_e32 v33, vcc_lo, v19, v33, vcc_lo
	ds_store_b64 v0, v[32:33] offset:784
	v_cmpx_ne_u32_e32 0, v25
	s_cbranch_execz .LBB6_617
; %bb.616:                              ;   in Loop: Header=BB6_458 Depth=1
	ds_load_b64 v[32:33], v0 offset:584
	s_waitcnt lgkmcnt(0)
	v_add_co_u32 v32, vcc_lo, v32, 1
	v_add_co_ci_u32_e32 v33, vcc_lo, 0, v33, vcc_lo
	ds_store_b64 v0, v[32:33] offset:584
.LBB6_617:                              ;   in Loop: Header=BB6_458 Depth=1
	s_or_b32 exec_lo, exec_lo, s18
	v_add_co_u32 v8, vcc_lo, v8, 1
	v_add_co_ci_u32_e32 v9, vcc_lo, 0, v9, vcc_lo
.LBB6_618:                              ;   in Loop: Header=BB6_458 Depth=1
	s_or_b32 exec_lo, exec_lo, s10
	s_and_saveexec_b32 s10, s2
	s_cbranch_execz .LBB6_644
; %bb.619:                              ;   in Loop: Header=BB6_458 Depth=1
	s_and_saveexec_b32 s18, s3
	s_delay_alu instid0(SALU_CYCLE_1)
	s_xor_b32 s18, exec_lo, s18
	s_cbranch_execz .LBB6_641
; %bb.620:                              ;   in Loop: Header=BB6_458 Depth=1
	s_and_saveexec_b32 s19, s4
	s_cbranch_execz .LBB6_640
; %bb.621:                              ;   in Loop: Header=BB6_458 Depth=1
	s_mov_b32 s21, exec_lo
	s_mov_b32 s20, exec_lo
	v_mbcnt_lo_u32_b32 v25, s21, 0
	s_waitcnt lgkmcnt(0)
	s_waitcnt_vscnt null, 0x0
	buffer_gl1_inv
	buffer_gl0_inv
	v_cmpx_eq_u32_e32 0, v25
	s_cbranch_execz .LBB6_623
; %bb.622:                              ;   in Loop: Header=BB6_458 Depth=1
	s_bcnt1_i32_b32 s21, s21
	s_delay_alu instid0(SALU_CYCLE_1)
	v_mov_b32_e32 v25, s21
	ds_add_u64 v0, v[25:26]
	s_cbranch_execnz .LBB6_794
.LBB6_623:                              ;   in Loop: Header=BB6_458 Depth=1
	s_or_b32 exec_lo, exec_lo, s20
	s_cbranch_execnz .LBB6_782
; %bb.624:                              ;   in Loop: Header=BB6_458 Depth=1
	ds_load_b64 v[32:33], v0
	v_add_co_u32 v10, vcc_lo, v10, v50
	v_add_co_ci_u32_e32 v11, vcc_lo, 0, v11, vcc_lo
	s_mov_b32 s20, exec_lo
	s_waitcnt lgkmcnt(0)
	s_delay_alu instid0(VALU_DEP_1)
	v_cmpx_lt_u64_e64 v[32:33], v[10:11]
	s_cbranch_execz .LBB6_639
; %bb.625:                              ;   in Loop: Header=BB6_458 Depth=1
	s_mov_b32 s21, 0
	s_mov_b32 s24, 0
                                        ; implicit-def: $sgpr22
                                        ; implicit-def: $sgpr23
	s_branch .LBB6_631
.LBB6_626:                              ;   in Loop: Header=BB6_458 Depth=1
	v_mad_u64_u32 v[36:37], null, v32, 24, v[6:7]
	v_ashrrev_i32_e32 v25, 31, v24
	s_mov_b32 s19, -1
	s_delay_alu instid0(VALU_DEP_1)
	v_lshlrev_b64 v[33:34], 2, v[24:25]
	flat_load_b32 v35, v[36:37]
	flat_store_b64 v[36:37], v[33:34] offset:8
	s_waitcnt vmcnt(0) lgkmcnt(1)
	v_cmp_eq_u32_e32 vcc_lo, 1, v35
                                        ; implicit-def: $vgpr34_vgpr35
	s_and_saveexec_b32 s20, vcc_lo
	s_cbranch_execz .LBB6_628
; %bb.627:                              ;   in Loop: Header=BB6_458 Depth=1
	flat_load_b32 v32, v[36:37] offset:4 glc
	s_xor_b32 s19, exec_lo, -1
	s_waitcnt vmcnt(0) lgkmcnt(0)
	v_ashrrev_i32_e32 v33, 31, v32
	s_delay_alu instid0(VALU_DEP_1)
	v_lshrrev_b64 v[34:35], 2, v[32:33]
                                        ; implicit-def: $vgpr32_vgpr33
.LBB6_628:                              ;   in Loop: Header=BB6_458 Depth=1
	s_or_b32 exec_lo, exec_lo, s20
	s_delay_alu instid0(SALU_CYCLE_1)
	s_and_b32 s19, s19, exec_lo
	s_and_not1_saveexec_b32 s18, s18
	s_cbranch_execz .LBB6_613
.LBB6_629:                              ;   in Loop: Header=BB6_458 Depth=1
	s_or_b32 s19, s19, exec_lo
                                        ; implicit-def: $vgpr34_vgpr35
	s_or_b32 exec_lo, exec_lo, s18
	s_and_saveexec_b32 s18, s19
	s_cbranch_execnz .LBB6_614
	s_branch .LBB6_615
.LBB6_630:                              ;   in Loop: Header=BB6_631 Depth=2
	s_or_b32 exec_lo, exec_lo, s27
	s_delay_alu instid0(SALU_CYCLE_1) | instskip(NEXT) | instid1(SALU_CYCLE_1)
	s_and_b32 s25, exec_lo, s26
	s_or_b32 s21, s25, s21
	s_and_not1_b32 s22, s22, exec_lo
	s_and_b32 s25, s23, exec_lo
	s_delay_alu instid0(SALU_CYCLE_1)
	s_or_b32 s22, s22, s25
	s_and_not1_b32 exec_lo, exec_lo, s21
	s_cbranch_execz .LBB6_637
.LBB6_631:                              ;   Parent Loop BB6_458 Depth=1
                                        ; =>  This Inner Loop Header: Depth=2
	s_add_i32 s24, s24, 1
                                        ; implicit-def: $sgpr26
	s_delay_alu instid0(SALU_CYCLE_1) | instskip(SKIP_1) | instid1(SALU_CYCLE_1)
	s_cmpk_lg_i32 s24, 0x2710
	s_cselect_b32 s25, -1, 0
	s_and_b32 vcc_lo, exec_lo, s25
	s_cbranch_vccz .LBB6_635
.LBB6_632:                              ;   in Loop: Header=BB6_631 Depth=2
	s_and_not1_b32 s23, s23, exec_lo
	s_and_b32 s27, s26, exec_lo
	s_mov_b32 s26, -1
	s_or_b32 s23, s23, s27
	s_and_saveexec_b32 s27, s25
	s_cbranch_execz .LBB6_630
; %bb.633:                              ;   in Loop: Header=BB6_631 Depth=2
	s_sleep 1
	s_cbranch_execnz .LBB6_830
; %bb.634:                              ;   in Loop: Header=BB6_631 Depth=2
	ds_load_b64 v[32:33], v0
	s_and_not1_b32 s23, s23, exec_lo
	s_waitcnt lgkmcnt(0)
	v_cmp_ge_u64_e32 vcc_lo, v[32:33], v[10:11]
	s_or_not1_b32 s26, vcc_lo, exec_lo
	s_branch .LBB6_630
.LBB6_635:                              ;   in Loop: Header=BB6_631 Depth=2
	s_cbranch_execnz .LBB6_834
; %bb.636:                              ;   in Loop: Header=BB6_631 Depth=2
	ds_load_b64 v[32:33], v0
	s_and_not1_b32 s25, s25, exec_lo
	s_mov_b32 s24, 0
	s_mov_b32 s26, -1
	s_waitcnt lgkmcnt(0)
	flat_load_b32 v25, v[32:33] glc
	s_waitcnt vmcnt(0) lgkmcnt(0)
	buffer_gl1_inv
	buffer_gl0_inv
	v_cmp_eq_u32_e32 vcc_lo, 0, v25
	s_and_b32 s27, vcc_lo, exec_lo
	s_delay_alu instid0(SALU_CYCLE_1)
	s_or_b32 s25, s25, s27
	s_branch .LBB6_632
.LBB6_637:                              ;   in Loop: Header=BB6_458 Depth=1
	s_or_b32 exec_lo, exec_lo, s21
	s_and_saveexec_b32 s21, s22
	s_delay_alu instid0(SALU_CYCLE_1)
	s_xor_b32 s21, exec_lo, s21
	s_cbranch_execz .LBB6_639
; %bb.638:                              ;   in Loop: Header=BB6_458 Depth=1
	ds_store_b32 v0, v81
	s_cbranch_execnz .LBB6_924
.LBB6_639:                              ;   in Loop: Header=BB6_458 Depth=1
	s_or_b32 exec_lo, exec_lo, s20
	;;#ASMSTART
	s_wakeup
	;;#ASMEND
.LBB6_640:                              ;   in Loop: Header=BB6_458 Depth=1
	s_or_b32 exec_lo, exec_lo, s19
.LBB6_641:                              ;   in Loop: Header=BB6_458 Depth=1
	s_and_not1_saveexec_b32 s18, s18
	s_cbranch_execz .LBB6_643
; %bb.642:                              ;   in Loop: Header=BB6_458 Depth=1
	s_waitcnt lgkmcnt(0)
	s_waitcnt_vscnt null, 0x0
	buffer_gl1_inv
	buffer_gl0_inv
	s_barrier
.LBB6_643:                              ;   in Loop: Header=BB6_458 Depth=1
	s_or_b32 exec_lo, exec_lo, s18
.LBB6_644:                              ;   in Loop: Header=BB6_458 Depth=1
	s_delay_alu instid0(SALU_CYCLE_1)
	s_or_b32 exec_lo, exec_lo, s10
	s_cbranch_execnz .LBB6_727
; %bb.645:                              ;   in Loop: Header=BB6_458 Depth=1
	ds_load_b32 v25, v0
	v_cmp_lt_i32_e32 vcc_lo, 0, v24
	s_waitcnt lgkmcnt(0)
	v_readfirstlane_b32 s10, v25
	v_and_b32_e32 v25, 16, v38
	s_delay_alu instid0(VALU_DEP_2) | instskip(NEXT) | instid1(VALU_DEP_1)
	s_cmp_eq_u32 s10, 0
	v_cmp_ne_u32_e64 s10, 0, v25
	s_cselect_b32 s18, -1, 0
	s_delay_alu instid0(SALU_CYCLE_1)
	s_and_b32 s18, vcc_lo, s18
	s_delay_alu instid0(VALU_DEP_1) | instid1(SALU_CYCLE_1)
	s_and_b32 s18, s10, s18
	s_delay_alu instid0(SALU_CYCLE_1)
	s_and_saveexec_b32 s10, s18
	s_cbranch_execz .LBB6_647
; %bb.646:                              ;   in Loop: Header=BB6_458 Depth=1
	s_waitcnt_vscnt null, 0x0
	buffer_gl1_inv
	buffer_gl0_inv
.LBB6_647:                              ;   in Loop: Header=BB6_458 Depth=1
	s_or_b32 exec_lo, exec_lo, s10
	s_delay_alu instid0(SALU_CYCLE_1)
	s_mov_b32 s10, exec_lo
	v_cmpx_ne_u32_e32 0, v25
	s_cbranch_execz .LBB6_651
; %bb.648:                              ;   in Loop: Header=BB6_458 Depth=1
	s_and_saveexec_b32 s18, s7
	s_cbranch_execz .LBB6_650
; %bb.649:                              ;   in Loop: Header=BB6_458 Depth=1
	s_waitcnt_vscnt null, 0x0
	flat_store_b32 v[22:23], v81
.LBB6_650:                              ;   in Loop: Header=BB6_458 Depth=1
	s_or_b32 exec_lo, exec_lo, s18
	v_add_co_u32 v8, vcc_lo, v8, 1
	v_add_co_ci_u32_e32 v9, vcc_lo, 0, v9, vcc_lo
	s_waitcnt lgkmcnt(0)
	s_waitcnt_vscnt null, 0x0
	flat_store_b64 v[16:17], v[8:9]
.LBB6_651:                              ;   in Loop: Header=BB6_458 Depth=1
	s_or_b32 exec_lo, exec_lo, s10
.LBB6_652:                              ;   in Loop: Header=BB6_458 Depth=1
	s_delay_alu instid0(SALU_CYCLE_1) | instskip(SKIP_2) | instid1(VALU_DEP_1)
	s_or_b32 exec_lo, exec_lo, s11
	v_add_co_u32 v27, vcc_lo, v27, v12
	v_add_co_ci_u32_e32 v28, vcc_lo, 0, v28, vcc_lo
	v_cmp_ge_u64_e32 vcc_lo, v[27:28], v[4:5]
	s_or_b32 s14, vcc_lo, s14
	s_delay_alu instid0(SALU_CYCLE_1)
	s_and_not1_b32 exec_lo, exec_lo, s14
	s_cbranch_execnz .LBB6_458
; %bb.653:
	s_or_b32 exec_lo, exec_lo, s14
.LBB6_654:
	s_delay_alu instid0(SALU_CYCLE_1)
	s_or_b32 exec_lo, exec_lo, s15
.LBB6_655:
	s_delay_alu instid0(SALU_CYCLE_1) | instskip(SKIP_2) | instid1(VALU_DEP_1)
	s_or_b32 exec_lo, exec_lo, s12
	v_and_b32_e32 v0, 0x800, v38
	s_mov_b32 s0, exec_lo
	v_cmpx_eq_u32_e32 0, v0
	s_cbranch_execz .LBB6_878
; %bb.656:
	v_and_b32_e32 v0, 48, v38
	s_mov_b32 s1, exec_lo
	s_delay_alu instid0(VALU_DEP_1)
	v_cmpx_ne_u32_e32 0, v0
	s_cbranch_execz .LBB6_658
; %bb.657:
	s_waitcnt lgkmcnt(0)
	flat_store_b64 v[14:15], v[8:9] offset:104
.LBB6_658:
	s_or_b32 exec_lo, exec_lo, s1
	v_and_b32_e32 v0, 0x88, v38
	s_mov_b32 s1, exec_lo
	s_delay_alu instid0(VALU_DEP_1)
	v_cmpx_eq_u32_e32 0x88, v0
	s_cbranch_execz .LBB6_708
; %bb.659:
	s_waitcnt lgkmcnt(0)
	v_add_nc_u32_e32 v0, -1, v8
	s_mov_b32 s2, 0
                                        ; implicit-def: $sgpr3
	s_delay_alu instid0(VALU_DEP_1) | instskip(NEXT) | instid1(VALU_DEP_1)
	v_and_b32_e32 v0, 7, v0
	v_mad_u64_u32 v[4:5], null, v0, 24, v[6:7]
	v_mov_b32_e32 v0, 0
	s_delay_alu instid0(VALU_DEP_2) | instskip(NEXT) | instid1(VALU_DEP_3)
	v_add_co_u32 v4, vcc_lo, v4, 8
	v_add_co_ci_u32_e32 v5, vcc_lo, 0, v5, vcc_lo
	s_branch .LBB6_692
.LBB6_660:
	s_trap 2
	s_sendmsg_rtn_b32 s0, sendmsg(MSG_RTN_GET_DOORBELL)
	s_mov_b32 ttmp2, m0
	s_waitcnt lgkmcnt(0)
	s_and_b32 s0, s0, 0x3ff
	s_delay_alu instid0(SALU_CYCLE_1) | instskip(NEXT) | instid1(SALU_CYCLE_1)
	s_bitset1_b32 s0, 10
	s_mov_b32 m0, s0
	s_sendmsg sendmsg(MSG_INTERRUPT)
	s_mov_b32 m0, ttmp2
.LBB6_661:                              ; =>This Inner Loop Header: Depth=1
	s_sethalt 5
	s_branch .LBB6_661
.LBB6_662:
	v_bfe_u32 v10, v6, 8, 8
	v_not_b32_e32 v8, v8
	s_mov_b32 s1, exec_lo
                                        ; implicit-def: $vgpr29_vgpr30
                                        ; implicit-def: $vgpr4_vgpr5
                                        ; implicit-def: $vgpr24_vgpr25
	s_delay_alu instid0(VALU_DEP_2)
	v_cmpx_ne_u32_e64 v10, v9
	s_xor_b32 s1, exec_lo, s1
	s_cbranch_execz .LBB6_664
; %bb.663:
	s_clause 0x1
	flat_load_b128 v[4:7], v[2:3] offset:72
	flat_load_b64 v[10:11], v[2:3] offset:96
	v_add_nc_u32_e32 v8, v9, v8
	s_delay_alu instid0(VALU_DEP_1) | instskip(SKIP_1) | instid1(VALU_DEP_1)
	v_ashrrev_i32_e32 v9, 31, v8
	s_waitcnt vmcnt(1) lgkmcnt(1)
	v_mul_lo_u32 v9, v6, v9
	v_mad_u64_u32 v[24:25], null, v6, v8, v[4:5]
	v_mul_lo_u32 v4, v7, v8
	s_waitcnt vmcnt(0) lgkmcnt(0)
	v_lshrrev_b64 v[29:30], 14, v[10:11]
                                        ; implicit-def: $vgpr10
                                        ; implicit-def: $vgpr8
	s_delay_alu instid0(VALU_DEP_2)
	v_add3_u32 v25, v4, v25, v9
	v_dual_mov_b32 v4, v6 :: v_dual_mov_b32 v5, v7
.LBB6_664:
	s_and_not1_saveexec_b32 s1, s1
	s_cbranch_execz .LBB6_666
; %bb.665:
	s_clause 0x1
	flat_load_b128 v[11:14], v[2:3] offset:72
	flat_load_b128 v[4:7], v[2:3] offset:88
	s_waitcnt vmcnt(0) lgkmcnt(0)
	v_add_nc_u32_e32 v6, v10, v8
	s_delay_alu instid0(VALU_DEP_1) | instskip(NEXT) | instid1(VALU_DEP_1)
	v_ashrrev_i32_e32 v8, 31, v6
	v_mul_lo_u32 v8, v13, v8
	v_mad_u64_u32 v[24:25], null, v13, v6, v[11:12]
	v_mul_lo_u32 v6, v14, v6
	v_lshrrev_b32_e32 v29, 3, v7
	s_delay_alu instid0(VALU_DEP_2)
	v_add3_u32 v25, v6, v25, v8
.LBB6_666:
	s_or_b32 exec_lo, exec_lo, s1
	s_and_not1_saveexec_b32 s0, s0
	s_cbranch_execz .LBB6_3
.LBB6_667:
	s_clause 0x1
	flat_load_b64 v[6:7], v[2:3] offset:96
	flat_load_b64 v[4:5], v[2:3] offset:72
	v_mov_b32_e32 v24, 0
	v_mov_b32_e32 v25, 0
	s_waitcnt vmcnt(1) lgkmcnt(1)
	v_lshlrev_b64 v[29:30], 7, v[6:7]
	s_or_b32 exec_lo, exec_lo, s0
	s_cbranch_execz .LBB6_4
.LBB6_668:
	s_trap 2
	s_sendmsg_rtn_b32 s0, sendmsg(MSG_RTN_GET_DOORBELL)
	s_mov_b32 ttmp2, m0
	s_waitcnt lgkmcnt(0)
	s_and_b32 s0, s0, 0x3ff
	s_delay_alu instid0(SALU_CYCLE_1) | instskip(NEXT) | instid1(SALU_CYCLE_1)
	s_bitset1_b32 s0, 10
	s_mov_b32 m0, s0
	s_sendmsg sendmsg(MSG_INTERRUPT)
	s_mov_b32 m0, ttmp2
.LBB6_669:                              ; =>This Inner Loop Header: Depth=1
	s_sethalt 5
	s_branch .LBB6_669
.LBB6_670:
	s_trap 2
	s_sendmsg_rtn_b32 s0, sendmsg(MSG_RTN_GET_DOORBELL)
	s_mov_b32 ttmp2, m0
	s_waitcnt lgkmcnt(0)
	s_and_b32 s0, s0, 0x3ff
	s_delay_alu instid0(SALU_CYCLE_1) | instskip(NEXT) | instid1(SALU_CYCLE_1)
	s_bitset1_b32 s0, 10
	s_mov_b32 m0, s0
	s_sendmsg sendmsg(MSG_INTERRUPT)
	s_mov_b32 m0, ttmp2
.LBB6_671:                              ; =>This Inner Loop Header: Depth=1
	s_sethalt 5
	s_branch .LBB6_671
.LBB6_672:
	s_trap 2
	s_sendmsg_rtn_b32 s0, sendmsg(MSG_RTN_GET_DOORBELL)
	s_mov_b32 ttmp2, m0
	s_waitcnt lgkmcnt(0)
	s_and_b32 s0, s0, 0x3ff
	s_delay_alu instid0(SALU_CYCLE_1) | instskip(NEXT) | instid1(SALU_CYCLE_1)
	s_bitset1_b32 s0, 10
	s_mov_b32 m0, s0
	s_sendmsg sendmsg(MSG_INTERRUPT)
	s_mov_b32 m0, ttmp2
.LBB6_673:                              ; =>This Inner Loop Header: Depth=1
	s_sethalt 5
	s_branch .LBB6_673
.LBB6_674:
	s_trap 2
	s_sendmsg_rtn_b32 s0, sendmsg(MSG_RTN_GET_DOORBELL)
	s_mov_b32 ttmp2, m0
	s_waitcnt lgkmcnt(0)
	s_and_b32 s0, s0, 0x3ff
	s_delay_alu instid0(SALU_CYCLE_1) | instskip(NEXT) | instid1(SALU_CYCLE_1)
	s_bitset1_b32 s0, 10
	s_mov_b32 m0, s0
	s_sendmsg sendmsg(MSG_INTERRUPT)
	s_mov_b32 m0, ttmp2
.LBB6_675:                              ; =>This Inner Loop Header: Depth=1
	s_sethalt 5
	s_branch .LBB6_675
.LBB6_676:
	s_trap 2
	s_sendmsg_rtn_b32 s0, sendmsg(MSG_RTN_GET_DOORBELL)
	s_mov_b32 ttmp2, m0
	s_waitcnt lgkmcnt(0)
	s_and_b32 s0, s0, 0x3ff
	s_delay_alu instid0(SALU_CYCLE_1) | instskip(NEXT) | instid1(SALU_CYCLE_1)
	s_bitset1_b32 s0, 10
	s_mov_b32 m0, s0
	s_sendmsg sendmsg(MSG_INTERRUPT)
	s_mov_b32 m0, ttmp2
.LBB6_677:                              ; =>This Inner Loop Header: Depth=1
	s_sethalt 5
	s_branch .LBB6_677
.LBB6_678:
	s_trap 2
	s_sendmsg_rtn_b32 s0, sendmsg(MSG_RTN_GET_DOORBELL)
	s_mov_b32 ttmp2, m0
	s_waitcnt lgkmcnt(0)
	s_and_b32 s0, s0, 0x3ff
	s_delay_alu instid0(SALU_CYCLE_1) | instskip(NEXT) | instid1(SALU_CYCLE_1)
	s_bitset1_b32 s0, 10
	s_mov_b32 m0, s0
	s_sendmsg sendmsg(MSG_INTERRUPT)
	s_mov_b32 m0, ttmp2
.LBB6_679:                              ; =>This Inner Loop Header: Depth=1
	s_sethalt 5
	s_branch .LBB6_679
.LBB6_680:
	s_trap 2
	s_sendmsg_rtn_b32 s0, sendmsg(MSG_RTN_GET_DOORBELL)
	s_mov_b32 ttmp2, m0
	s_waitcnt lgkmcnt(0)
	s_and_b32 s0, s0, 0x3ff
	s_delay_alu instid0(SALU_CYCLE_1) | instskip(NEXT) | instid1(SALU_CYCLE_1)
	s_bitset1_b32 s0, 10
	s_mov_b32 m0, s0
	s_sendmsg sendmsg(MSG_INTERRUPT)
	s_mov_b32 m0, ttmp2
.LBB6_681:                              ; =>This Inner Loop Header: Depth=1
	s_sethalt 5
	s_branch .LBB6_681
.LBB6_682:
	s_trap 2
	s_sendmsg_rtn_b32 s0, sendmsg(MSG_RTN_GET_DOORBELL)
	s_mov_b32 ttmp2, m0
	s_waitcnt lgkmcnt(0)
	s_and_b32 s0, s0, 0x3ff
	s_delay_alu instid0(SALU_CYCLE_1) | instskip(NEXT) | instid1(SALU_CYCLE_1)
	s_bitset1_b32 s0, 10
	s_mov_b32 m0, s0
	s_sendmsg sendmsg(MSG_INTERRUPT)
	s_mov_b32 m0, ttmp2
.LBB6_683:                              ; =>This Inner Loop Header: Depth=1
	s_sethalt 5
	s_branch .LBB6_683
.LBB6_684:
	s_trap 2
	s_sendmsg_rtn_b32 s0, sendmsg(MSG_RTN_GET_DOORBELL)
	s_mov_b32 ttmp2, m0
	s_waitcnt lgkmcnt(0)
	s_and_b32 s0, s0, 0x3ff
	s_delay_alu instid0(SALU_CYCLE_1) | instskip(NEXT) | instid1(SALU_CYCLE_1)
	s_bitset1_b32 s0, 10
	s_mov_b32 m0, s0
	s_sendmsg sendmsg(MSG_INTERRUPT)
	s_mov_b32 m0, ttmp2
.LBB6_685:                              ; =>This Inner Loop Header: Depth=1
	s_sethalt 5
	s_branch .LBB6_685
.LBB6_686:
	s_trap 2
	s_sendmsg_rtn_b32 s0, sendmsg(MSG_RTN_GET_DOORBELL)
	s_mov_b32 ttmp2, m0
	s_waitcnt lgkmcnt(0)
	s_and_b32 s0, s0, 0x3ff
	s_delay_alu instid0(SALU_CYCLE_1) | instskip(NEXT) | instid1(SALU_CYCLE_1)
	s_bitset1_b32 s0, 10
	s_mov_b32 m0, s0
	s_sendmsg sendmsg(MSG_INTERRUPT)
	s_mov_b32 m0, ttmp2
.LBB6_687:                              ; =>This Inner Loop Header: Depth=1
	s_sethalt 5
	s_branch .LBB6_687
.LBB6_688:                              ;   in Loop: Header=BB6_692 Depth=1
	s_or_b32 exec_lo, exec_lo, s10
	v_mov_b32_e32 v6, 0
	s_or_not1_b32 s7, s7, exec_lo
.LBB6_689:                              ;   in Loop: Header=BB6_692 Depth=1
	s_or_b32 exec_lo, exec_lo, s6
	s_delay_alu instid0(VALU_DEP_1)
	v_mov_b32_e32 v0, v6
	s_and_b32 s6, s7, exec_lo
.LBB6_690:                              ;   in Loop: Header=BB6_692 Depth=1
	s_or_b32 exec_lo, exec_lo, s5
	s_xor_b32 s5, s6, -1
	s_and_not1_b32 s3, s3, exec_lo
	s_and_b32 s5, s5, exec_lo
	s_delay_alu instid0(SALU_CYCLE_1)
	s_or_b32 s3, s3, s5
.LBB6_691:                              ;   in Loop: Header=BB6_692 Depth=1
	s_or_b32 exec_lo, exec_lo, s4
	s_delay_alu instid0(SALU_CYCLE_1) | instskip(NEXT) | instid1(SALU_CYCLE_1)
	s_and_b32 s4, exec_lo, s3
	s_or_b32 s2, s4, s2
	s_delay_alu instid0(SALU_CYCLE_1)
	s_and_not1_b32 exec_lo, exec_lo, s2
	s_cbranch_execz .LBB6_707
.LBB6_692:                              ; =>This Inner Loop Header: Depth=1
	flat_load_b64 v[6:7], v[4:5] glc dlc
	s_waitcnt vmcnt(0)
	s_or_b32 s3, s3, exec_lo
	s_mov_b32 s4, exec_lo
	s_waitcnt lgkmcnt(0)
	v_cmpx_ne_u64_e32 -1, v[6:7]
	s_cbranch_execz .LBB6_691
; %bb.693:                              ;   in Loop: Header=BB6_692 Depth=1
	v_and_b32_e32 v6, 64, v38
	s_mov_b32 s6, 0
	s_mov_b32 s5, exec_lo
	s_delay_alu instid0(VALU_DEP_1)
	v_cmpx_eq_u32_e32 0, v6
	s_cbranch_execz .LBB6_690
; %bb.694:                              ;   in Loop: Header=BB6_692 Depth=1
	v_add_nc_u32_e32 v6, 1, v0
	s_mov_b32 s7, -1
	s_mov_b32 s6, exec_lo
	v_cmpx_lt_i32_e32 0x270e, v0
	s_cbranch_execz .LBB6_689
; %bb.695:                              ;   in Loop: Header=BB6_692 Depth=1
	s_cbranch_execnz .LBB6_699
; %bb.696:                              ;   in Loop: Header=BB6_692 Depth=1
	ds_load_b64 v[6:7], v0
	s_mov_b32 s10, exec_lo
	s_waitcnt lgkmcnt(0)
	s_waitcnt_vscnt null, 0x0
	flat_load_b32 v0, v[6:7] glc
	s_waitcnt vmcnt(0) lgkmcnt(0)
	buffer_gl1_inv
	buffer_gl0_inv
	v_cmpx_ne_u32_e32 0, v0
	s_cbranch_execz .LBB6_688
; %bb.697:                              ;   in Loop: Header=BB6_692 Depth=1
	ds_store_b32 v0, v0
	s_cbranch_execnz .LBB6_721
; %bb.698:                              ;   in Loop: Header=BB6_692 Depth=1
	v_or_b32_e32 v38, 64, v38
	s_xor_b32 s7, exec_lo, -1
	s_branch .LBB6_688
.LBB6_699:
	s_trap 2
	s_sendmsg_rtn_b32 s0, sendmsg(MSG_RTN_GET_DOORBELL)
	s_mov_b32 ttmp2, m0
	s_waitcnt lgkmcnt(0)
	s_and_b32 s0, s0, 0x3ff
	s_delay_alu instid0(SALU_CYCLE_1) | instskip(NEXT) | instid1(SALU_CYCLE_1)
	s_bitset1_b32 s0, 10
	s_mov_b32 m0, s0
	s_sendmsg sendmsg(MSG_INTERRUPT)
	s_mov_b32 m0, ttmp2
.LBB6_700:                              ; =>This Inner Loop Header: Depth=1
	s_sethalt 5
	s_branch .LBB6_700
.LBB6_701:
	s_trap 2
	s_sendmsg_rtn_b32 s0, sendmsg(MSG_RTN_GET_DOORBELL)
	s_mov_b32 ttmp2, m0
	s_waitcnt lgkmcnt(0)
	s_and_b32 s0, s0, 0x3ff
	s_delay_alu instid0(SALU_CYCLE_1) | instskip(NEXT) | instid1(SALU_CYCLE_1)
	s_bitset1_b32 s0, 10
	s_mov_b32 m0, s0
	s_sendmsg sendmsg(MSG_INTERRUPT)
	s_mov_b32 m0, ttmp2
.LBB6_702:                              ; =>This Inner Loop Header: Depth=1
	s_sethalt 5
	s_branch .LBB6_702
.LBB6_703:
	s_trap 2
	s_sendmsg_rtn_b32 s0, sendmsg(MSG_RTN_GET_DOORBELL)
	s_mov_b32 ttmp2, m0
	s_waitcnt lgkmcnt(0)
	s_and_b32 s0, s0, 0x3ff
	s_delay_alu instid0(SALU_CYCLE_1) | instskip(NEXT) | instid1(SALU_CYCLE_1)
	s_bitset1_b32 s0, 10
	s_mov_b32 m0, s0
	s_sendmsg sendmsg(MSG_INTERRUPT)
	s_mov_b32 m0, ttmp2
.LBB6_704:                              ; =>This Inner Loop Header: Depth=1
	s_sethalt 5
	s_branch .LBB6_704
.LBB6_705:
	s_trap 2
	s_sendmsg_rtn_b32 s0, sendmsg(MSG_RTN_GET_DOORBELL)
	s_mov_b32 ttmp2, m0
	s_waitcnt lgkmcnt(0)
	s_and_b32 s0, s0, 0x3ff
	s_delay_alu instid0(SALU_CYCLE_1) | instskip(NEXT) | instid1(SALU_CYCLE_1)
	s_bitset1_b32 s0, 10
	s_mov_b32 m0, s0
	s_sendmsg sendmsg(MSG_INTERRUPT)
	s_mov_b32 m0, ttmp2
.LBB6_706:                              ; =>This Inner Loop Header: Depth=1
	s_sethalt 5
	s_branch .LBB6_706
.LBB6_707:
	s_or_b32 exec_lo, exec_lo, s2
.LBB6_708:
	s_delay_alu instid0(SALU_CYCLE_1) | instskip(SKIP_2) | instid1(VALU_DEP_1)
	s_or_b32 exec_lo, exec_lo, s1
	v_and_b32_e32 v0, 0x2000, v38
	s_mov_b32 s1, exec_lo
	v_cmpx_ne_u32_e32 0, v0
	s_cbranch_execz .LBB6_711
; %bb.709:
	s_cbranch_execnz .LBB6_719
; %bb.710:
	ds_load_b64 v[4:5], v0
	s_waitcnt lgkmcnt(0)
	flat_store_b64 v[2:3], v[4:5] offset:16
.LBB6_711:
	s_or_b32 exec_lo, exec_lo, s1
	v_cmp_ne_u32_e32 vcc_lo, 32, v1
	s_and_b32 exec_lo, exec_lo, vcc_lo
	s_cbranch_execz .LBB6_878
; %bb.712:
	s_mov_b32 s1, exec_lo
	v_cmpx_ne_u32_e64 v39, v1
	s_xor_b32 s1, exec_lo, s1
	s_cbranch_execz .LBB6_876
; %bb.713:
	v_and_b32_e32 v0, 31, v31
	s_mov_b32 s2, exec_lo
	s_delay_alu instid0(VALU_DEP_1)
	v_cmpx_eq_u32_e32 0, v0
	s_cbranch_execz .LBB6_875
; %bb.714:
	s_mov_b32 s4, exec_lo
	s_mov_b32 s3, exec_lo
	v_mbcnt_lo_u32_b32 v0, s4, 0
	s_waitcnt lgkmcnt(0)
	s_waitcnt_vscnt null, 0x0
	buffer_gl1_inv
	buffer_gl0_inv
	v_cmpx_eq_u32_e32 0, v0
	s_cbranch_execz .LBB6_716
; %bb.715:
	s_bcnt1_i32_b32 s4, s4
	s_delay_alu instid0(SALU_CYCLE_1)
	v_dual_mov_b32 v3, 0 :: v_dual_mov_b32 v2, s4
	ds_add_u64 v0, v[2:3]
	s_cbranch_execnz .LBB6_764
.LBB6_716:
	s_or_b32 exec_lo, exec_lo, s3
	s_cbranch_execnz .LBB6_749
; %bb.717:
	v_ashrrev_i32_e32 v0, 31, v1
	s_mov_b32 s3, exec_lo
	s_delay_alu instid0(VALU_DEP_1) | instskip(NEXT) | instid1(VALU_DEP_1)
	v_lshrrev_b32_e32 v0, 27, v0
	v_add_nc_u32_e32 v0, v1, v0
	ds_load_b64 v[2:3], v0
	v_ashrrev_i32_e32 v0, 5, v0
	s_delay_alu instid0(VALU_DEP_1) | instskip(SKIP_1) | instid1(VALU_DEP_2)
	v_ashrrev_i32_e32 v1, 31, v0
	v_add_co_u32 v0, vcc_lo, v10, v0
	v_add_co_ci_u32_e32 v1, vcc_lo, v11, v1, vcc_lo
	s_waitcnt lgkmcnt(0)
	s_delay_alu instid0(VALU_DEP_1)
	v_cmpx_lt_u64_e64 v[2:3], v[0:1]
	s_cbranch_execz .LBB6_874
; %bb.718:
	s_mov_b32 s4, 0
	s_mov_b32 s7, 0
                                        ; implicit-def: $sgpr5
                                        ; implicit-def: $sgpr6
	s_branch .LBB6_754
.LBB6_719:
	s_trap 2
	s_sendmsg_rtn_b32 s0, sendmsg(MSG_RTN_GET_DOORBELL)
	s_mov_b32 ttmp2, m0
	s_waitcnt lgkmcnt(0)
	s_and_b32 s0, s0, 0x3ff
	s_delay_alu instid0(SALU_CYCLE_1) | instskip(NEXT) | instid1(SALU_CYCLE_1)
	s_bitset1_b32 s0, 10
	s_mov_b32 m0, s0
	s_sendmsg sendmsg(MSG_INTERRUPT)
	s_mov_b32 m0, ttmp2
.LBB6_720:                              ; =>This Inner Loop Header: Depth=1
	s_sethalt 5
	s_branch .LBB6_720
.LBB6_721:
	s_trap 2
	s_sendmsg_rtn_b32 s0, sendmsg(MSG_RTN_GET_DOORBELL)
	s_mov_b32 ttmp2, m0
	s_waitcnt lgkmcnt(0)
	s_and_b32 s0, s0, 0x3ff
	s_delay_alu instid0(SALU_CYCLE_1) | instskip(NEXT) | instid1(SALU_CYCLE_1)
	s_bitset1_b32 s0, 10
	s_mov_b32 m0, s0
	s_sendmsg sendmsg(MSG_INTERRUPT)
	s_mov_b32 m0, ttmp2
.LBB6_722:                              ; =>This Inner Loop Header: Depth=1
	s_sethalt 5
	s_branch .LBB6_722
.LBB6_723:
	s_trap 2
	s_sendmsg_rtn_b32 s0, sendmsg(MSG_RTN_GET_DOORBELL)
	s_mov_b32 ttmp2, m0
	s_waitcnt lgkmcnt(0)
	s_and_b32 s0, s0, 0x3ff
	s_delay_alu instid0(SALU_CYCLE_1) | instskip(NEXT) | instid1(SALU_CYCLE_1)
	s_bitset1_b32 s0, 10
	s_mov_b32 m0, s0
	s_sendmsg sendmsg(MSG_INTERRUPT)
	s_mov_b32 m0, ttmp2
.LBB6_724:                              ; =>This Inner Loop Header: Depth=1
	s_sethalt 5
	s_branch .LBB6_724
.LBB6_725:
	s_trap 2
	s_sendmsg_rtn_b32 s0, sendmsg(MSG_RTN_GET_DOORBELL)
	s_mov_b32 ttmp2, m0
	s_waitcnt lgkmcnt(0)
	s_and_b32 s0, s0, 0x3ff
	s_delay_alu instid0(SALU_CYCLE_1) | instskip(NEXT) | instid1(SALU_CYCLE_1)
	s_bitset1_b32 s0, 10
	s_mov_b32 m0, s0
	s_sendmsg sendmsg(MSG_INTERRUPT)
	s_mov_b32 m0, ttmp2
.LBB6_726:                              ; =>This Inner Loop Header: Depth=1
	s_sethalt 5
	s_branch .LBB6_726
.LBB6_727:
	s_trap 2
	s_sendmsg_rtn_b32 s0, sendmsg(MSG_RTN_GET_DOORBELL)
	s_mov_b32 ttmp2, m0
	s_waitcnt lgkmcnt(0)
	s_and_b32 s0, s0, 0x3ff
	s_delay_alu instid0(SALU_CYCLE_1) | instskip(NEXT) | instid1(SALU_CYCLE_1)
	s_bitset1_b32 s0, 10
	s_mov_b32 m0, s0
	s_sendmsg sendmsg(MSG_INTERRUPT)
	s_mov_b32 m0, ttmp2
.LBB6_728:                              ; =>This Inner Loop Header: Depth=1
	s_sethalt 5
	s_branch .LBB6_728
.LBB6_729:
	s_trap 2
	s_sendmsg_rtn_b32 s0, sendmsg(MSG_RTN_GET_DOORBELL)
	s_mov_b32 ttmp2, m0
	s_waitcnt lgkmcnt(0)
	s_and_b32 s0, s0, 0x3ff
	s_delay_alu instid0(SALU_CYCLE_1) | instskip(NEXT) | instid1(SALU_CYCLE_1)
	s_bitset1_b32 s0, 10
	s_mov_b32 m0, s0
	s_sendmsg sendmsg(MSG_INTERRUPT)
	s_mov_b32 m0, ttmp2
.LBB6_730:                              ; =>This Inner Loop Header: Depth=1
	s_sethalt 5
	s_branch .LBB6_730
.LBB6_731:
	s_trap 2
	s_sendmsg_rtn_b32 s0, sendmsg(MSG_RTN_GET_DOORBELL)
	s_mov_b32 ttmp2, m0
	s_waitcnt lgkmcnt(0)
	s_and_b32 s0, s0, 0x3ff
	s_delay_alu instid0(SALU_CYCLE_1) | instskip(NEXT) | instid1(SALU_CYCLE_1)
	s_bitset1_b32 s0, 10
	s_mov_b32 m0, s0
	s_sendmsg sendmsg(MSG_INTERRUPT)
	s_mov_b32 m0, ttmp2
.LBB6_732:                              ; =>This Inner Loop Header: Depth=1
	s_sethalt 5
	s_branch .LBB6_732
.LBB6_733:
	s_trap 2
	s_sendmsg_rtn_b32 s0, sendmsg(MSG_RTN_GET_DOORBELL)
	s_mov_b32 ttmp2, m0
	s_waitcnt lgkmcnt(0)
	s_and_b32 s0, s0, 0x3ff
	s_delay_alu instid0(SALU_CYCLE_1) | instskip(NEXT) | instid1(SALU_CYCLE_1)
	s_bitset1_b32 s0, 10
	s_mov_b32 m0, s0
	s_sendmsg sendmsg(MSG_INTERRUPT)
	s_mov_b32 m0, ttmp2
.LBB6_734:                              ; =>This Inner Loop Header: Depth=1
	s_sethalt 5
	s_branch .LBB6_734
.LBB6_735:
	s_trap 2
	s_sendmsg_rtn_b32 s0, sendmsg(MSG_RTN_GET_DOORBELL)
	s_mov_b32 ttmp2, m0
	s_waitcnt lgkmcnt(0)
	s_and_b32 s0, s0, 0x3ff
	s_delay_alu instid0(SALU_CYCLE_1) | instskip(NEXT) | instid1(SALU_CYCLE_1)
	s_bitset1_b32 s0, 10
	s_mov_b32 m0, s0
	s_sendmsg sendmsg(MSG_INTERRUPT)
	s_mov_b32 m0, ttmp2
.LBB6_736:                              ; =>This Inner Loop Header: Depth=1
	s_sethalt 5
	s_branch .LBB6_736
.LBB6_737:
	s_trap 2
	s_sendmsg_rtn_b32 s0, sendmsg(MSG_RTN_GET_DOORBELL)
	s_mov_b32 ttmp2, m0
	s_waitcnt lgkmcnt(0)
	s_and_b32 s0, s0, 0x3ff
	s_delay_alu instid0(SALU_CYCLE_1) | instskip(NEXT) | instid1(SALU_CYCLE_1)
	s_bitset1_b32 s0, 10
	s_mov_b32 m0, s0
	s_sendmsg sendmsg(MSG_INTERRUPT)
	s_mov_b32 m0, ttmp2
.LBB6_738:                              ; =>This Inner Loop Header: Depth=1
	s_sethalt 5
	s_branch .LBB6_738
.LBB6_739:
	s_trap 2
	s_sendmsg_rtn_b32 s0, sendmsg(MSG_RTN_GET_DOORBELL)
	s_mov_b32 ttmp2, m0
	s_waitcnt lgkmcnt(0)
	s_and_b32 s0, s0, 0x3ff
	s_delay_alu instid0(SALU_CYCLE_1) | instskip(NEXT) | instid1(SALU_CYCLE_1)
	s_bitset1_b32 s0, 10
	s_mov_b32 m0, s0
	s_sendmsg sendmsg(MSG_INTERRUPT)
	s_mov_b32 m0, ttmp2
.LBB6_740:                              ; =>This Inner Loop Header: Depth=1
	s_sethalt 5
	s_branch .LBB6_740
.LBB6_741:
	s_trap 2
	s_sendmsg_rtn_b32 s0, sendmsg(MSG_RTN_GET_DOORBELL)
	s_mov_b32 ttmp2, m0
	s_waitcnt lgkmcnt(0)
	s_and_b32 s0, s0, 0x3ff
	s_delay_alu instid0(SALU_CYCLE_1) | instskip(NEXT) | instid1(SALU_CYCLE_1)
	s_bitset1_b32 s0, 10
	s_mov_b32 m0, s0
	s_sendmsg sendmsg(MSG_INTERRUPT)
	s_mov_b32 m0, ttmp2
.LBB6_742:                              ; =>This Inner Loop Header: Depth=1
	s_sethalt 5
	s_branch .LBB6_742
.LBB6_743:
	s_trap 2
	s_sendmsg_rtn_b32 s0, sendmsg(MSG_RTN_GET_DOORBELL)
	s_mov_b32 ttmp2, m0
	s_waitcnt lgkmcnt(0)
	s_and_b32 s0, s0, 0x3ff
	s_delay_alu instid0(SALU_CYCLE_1) | instskip(NEXT) | instid1(SALU_CYCLE_1)
	s_bitset1_b32 s0, 10
	s_mov_b32 m0, s0
	s_sendmsg sendmsg(MSG_INTERRUPT)
	s_mov_b32 m0, ttmp2
.LBB6_744:                              ; =>This Inner Loop Header: Depth=1
	s_sethalt 5
	s_branch .LBB6_744
.LBB6_745:
	s_trap 2
	s_sendmsg_rtn_b32 s0, sendmsg(MSG_RTN_GET_DOORBELL)
	s_mov_b32 ttmp2, m0
	s_waitcnt lgkmcnt(0)
	s_and_b32 s0, s0, 0x3ff
	s_delay_alu instid0(SALU_CYCLE_1) | instskip(NEXT) | instid1(SALU_CYCLE_1)
	s_bitset1_b32 s0, 10
	s_mov_b32 m0, s0
	s_sendmsg sendmsg(MSG_INTERRUPT)
	s_mov_b32 m0, ttmp2
.LBB6_746:                              ; =>This Inner Loop Header: Depth=1
	s_sethalt 5
	s_branch .LBB6_746
.LBB6_747:
	s_trap 2
	s_sendmsg_rtn_b32 s0, sendmsg(MSG_RTN_GET_DOORBELL)
	s_mov_b32 ttmp2, m0
	s_waitcnt lgkmcnt(0)
	s_and_b32 s0, s0, 0x3ff
	s_delay_alu instid0(SALU_CYCLE_1) | instskip(NEXT) | instid1(SALU_CYCLE_1)
	s_bitset1_b32 s0, 10
	s_mov_b32 m0, s0
	s_sendmsg sendmsg(MSG_INTERRUPT)
	s_mov_b32 m0, ttmp2
.LBB6_748:                              ; =>This Inner Loop Header: Depth=1
	s_sethalt 5
	s_branch .LBB6_748
.LBB6_749:
	s_trap 2
	s_sendmsg_rtn_b32 s0, sendmsg(MSG_RTN_GET_DOORBELL)
	s_mov_b32 ttmp2, m0
	s_waitcnt lgkmcnt(0)
	s_and_b32 s0, s0, 0x3ff
	s_delay_alu instid0(SALU_CYCLE_1) | instskip(NEXT) | instid1(SALU_CYCLE_1)
	s_bitset1_b32 s0, 10
	s_mov_b32 m0, s0
	s_sendmsg sendmsg(MSG_INTERRUPT)
	s_mov_b32 m0, ttmp2
.LBB6_750:                              ; =>This Inner Loop Header: Depth=1
	s_sethalt 5
	s_branch .LBB6_750
.LBB6_751:
	s_trap 2
	s_sendmsg_rtn_b32 s0, sendmsg(MSG_RTN_GET_DOORBELL)
	s_mov_b32 ttmp2, m0
	s_waitcnt lgkmcnt(0)
	s_and_b32 s0, s0, 0x3ff
	s_delay_alu instid0(SALU_CYCLE_1) | instskip(NEXT) | instid1(SALU_CYCLE_1)
	s_bitset1_b32 s0, 10
	s_mov_b32 m0, s0
	s_sendmsg sendmsg(MSG_INTERRUPT)
	s_mov_b32 m0, ttmp2
.LBB6_752:                              ; =>This Inner Loop Header: Depth=1
	s_sethalt 5
	s_branch .LBB6_752
.LBB6_753:                              ;   in Loop: Header=BB6_754 Depth=1
	s_or_b32 exec_lo, exec_lo, s12
	s_delay_alu instid0(SALU_CYCLE_1) | instskip(NEXT) | instid1(SALU_CYCLE_1)
	s_and_b32 s10, exec_lo, s11
	s_or_b32 s4, s10, s4
	s_and_not1_b32 s5, s5, exec_lo
	s_and_b32 s10, s6, exec_lo
	s_delay_alu instid0(SALU_CYCLE_1)
	s_or_b32 s5, s5, s10
	s_and_not1_b32 exec_lo, exec_lo, s4
	s_cbranch_execz .LBB6_872
.LBB6_754:                              ; =>This Inner Loop Header: Depth=1
	s_add_i32 s7, s7, 1
                                        ; implicit-def: $sgpr11
	s_delay_alu instid0(SALU_CYCLE_1) | instskip(SKIP_1) | instid1(SALU_CYCLE_1)
	s_cmpk_lg_i32 s7, 0x2710
	s_cselect_b32 s10, -1, 0
	s_and_b32 vcc_lo, exec_lo, s10
	s_cbranch_vccz .LBB6_758
.LBB6_755:                              ;   in Loop: Header=BB6_754 Depth=1
	s_and_not1_b32 s6, s6, exec_lo
	s_and_b32 s12, s11, exec_lo
	s_mov_b32 s11, -1
	s_or_b32 s6, s6, s12
	s_and_saveexec_b32 s12, s10
	s_cbranch_execz .LBB6_753
; %bb.756:                              ;   in Loop: Header=BB6_754 Depth=1
	s_sleep 1
	s_cbranch_execnz .LBB6_780
; %bb.757:                              ;   in Loop: Header=BB6_754 Depth=1
	ds_load_b64 v[2:3], v0
	s_and_not1_b32 s6, s6, exec_lo
	s_waitcnt lgkmcnt(0)
	v_cmp_ge_u64_e32 vcc_lo, v[2:3], v[0:1]
	s_or_not1_b32 s11, vcc_lo, exec_lo
	s_branch .LBB6_753
.LBB6_758:                              ;   in Loop: Header=BB6_754 Depth=1
	s_cbranch_execnz .LBB6_788
; %bb.759:                              ;   in Loop: Header=BB6_754 Depth=1
	ds_load_b64 v[2:3], v0
	s_and_not1_b32 s10, s10, exec_lo
	s_mov_b32 s7, 0
	s_mov_b32 s11, -1
	s_waitcnt lgkmcnt(0)
	flat_load_b32 v2, v[2:3] glc
	s_waitcnt vmcnt(0) lgkmcnt(0)
	buffer_gl1_inv
	buffer_gl0_inv
	v_cmp_eq_u32_e32 vcc_lo, 0, v2
	s_and_b32 s12, vcc_lo, exec_lo
	s_delay_alu instid0(SALU_CYCLE_1)
	s_or_b32 s10, s10, s12
	s_branch .LBB6_755
.LBB6_760:
	s_trap 2
	s_sendmsg_rtn_b32 s0, sendmsg(MSG_RTN_GET_DOORBELL)
	s_mov_b32 ttmp2, m0
	s_waitcnt lgkmcnt(0)
	s_and_b32 s0, s0, 0x3ff
	s_delay_alu instid0(SALU_CYCLE_1) | instskip(NEXT) | instid1(SALU_CYCLE_1)
	s_bitset1_b32 s0, 10
	s_mov_b32 m0, s0
	s_sendmsg sendmsg(MSG_INTERRUPT)
	s_mov_b32 m0, ttmp2
.LBB6_761:                              ; =>This Inner Loop Header: Depth=1
	s_sethalt 5
	s_branch .LBB6_761
.LBB6_762:
	s_trap 2
	s_sendmsg_rtn_b32 s0, sendmsg(MSG_RTN_GET_DOORBELL)
	s_mov_b32 ttmp2, m0
	s_waitcnt lgkmcnt(0)
	s_and_b32 s0, s0, 0x3ff
	s_delay_alu instid0(SALU_CYCLE_1) | instskip(NEXT) | instid1(SALU_CYCLE_1)
	s_bitset1_b32 s0, 10
	s_mov_b32 m0, s0
	s_sendmsg sendmsg(MSG_INTERRUPT)
	s_mov_b32 m0, ttmp2
.LBB6_763:                              ; =>This Inner Loop Header: Depth=1
	s_sethalt 5
	s_branch .LBB6_763
.LBB6_764:
	s_trap 2
	s_sendmsg_rtn_b32 s0, sendmsg(MSG_RTN_GET_DOORBELL)
	s_mov_b32 ttmp2, m0
	s_waitcnt lgkmcnt(0)
	s_and_b32 s0, s0, 0x3ff
	s_delay_alu instid0(SALU_CYCLE_1) | instskip(NEXT) | instid1(SALU_CYCLE_1)
	s_bitset1_b32 s0, 10
	s_mov_b32 m0, s0
	s_sendmsg sendmsg(MSG_INTERRUPT)
	s_mov_b32 m0, ttmp2
.LBB6_765:                              ; =>This Inner Loop Header: Depth=1
	s_sethalt 5
	s_branch .LBB6_765
.LBB6_766:
	s_trap 2
	s_sendmsg_rtn_b32 s0, sendmsg(MSG_RTN_GET_DOORBELL)
	s_mov_b32 ttmp2, m0
	s_waitcnt lgkmcnt(0)
	s_and_b32 s0, s0, 0x3ff
	s_delay_alu instid0(SALU_CYCLE_1) | instskip(NEXT) | instid1(SALU_CYCLE_1)
	s_bitset1_b32 s0, 10
	s_mov_b32 m0, s0
	s_sendmsg sendmsg(MSG_INTERRUPT)
	s_mov_b32 m0, ttmp2
.LBB6_767:                              ; =>This Inner Loop Header: Depth=1
	s_sethalt 5
	s_branch .LBB6_767
.LBB6_768:
	s_trap 2
	s_sendmsg_rtn_b32 s0, sendmsg(MSG_RTN_GET_DOORBELL)
	s_mov_b32 ttmp2, m0
	s_waitcnt lgkmcnt(0)
	s_and_b32 s0, s0, 0x3ff
	s_delay_alu instid0(SALU_CYCLE_1) | instskip(NEXT) | instid1(SALU_CYCLE_1)
	s_bitset1_b32 s0, 10
	s_mov_b32 m0, s0
	s_sendmsg sendmsg(MSG_INTERRUPT)
	s_mov_b32 m0, ttmp2
.LBB6_769:                              ; =>This Inner Loop Header: Depth=1
	s_sethalt 5
	s_branch .LBB6_769
.LBB6_770:
	s_trap 2
	s_sendmsg_rtn_b32 s0, sendmsg(MSG_RTN_GET_DOORBELL)
	s_mov_b32 ttmp2, m0
	s_waitcnt lgkmcnt(0)
	s_and_b32 s0, s0, 0x3ff
	s_delay_alu instid0(SALU_CYCLE_1) | instskip(NEXT) | instid1(SALU_CYCLE_1)
	s_bitset1_b32 s0, 10
	s_mov_b32 m0, s0
	s_sendmsg sendmsg(MSG_INTERRUPT)
	s_mov_b32 m0, ttmp2
.LBB6_771:                              ; =>This Inner Loop Header: Depth=1
	s_sethalt 5
	s_branch .LBB6_771
.LBB6_772:
	s_trap 2
	s_sendmsg_rtn_b32 s0, sendmsg(MSG_RTN_GET_DOORBELL)
	s_mov_b32 ttmp2, m0
	s_waitcnt lgkmcnt(0)
	s_and_b32 s0, s0, 0x3ff
	s_delay_alu instid0(SALU_CYCLE_1) | instskip(NEXT) | instid1(SALU_CYCLE_1)
	s_bitset1_b32 s0, 10
	s_mov_b32 m0, s0
	s_sendmsg sendmsg(MSG_INTERRUPT)
	s_mov_b32 m0, ttmp2
.LBB6_773:                              ; =>This Inner Loop Header: Depth=1
	s_sethalt 5
	s_branch .LBB6_773
.LBB6_774:
	s_trap 2
	s_sendmsg_rtn_b32 s0, sendmsg(MSG_RTN_GET_DOORBELL)
	s_mov_b32 ttmp2, m0
	s_waitcnt lgkmcnt(0)
	s_and_b32 s0, s0, 0x3ff
	s_delay_alu instid0(SALU_CYCLE_1) | instskip(NEXT) | instid1(SALU_CYCLE_1)
	s_bitset1_b32 s0, 10
	s_mov_b32 m0, s0
	s_sendmsg sendmsg(MSG_INTERRUPT)
	s_mov_b32 m0, ttmp2
.LBB6_775:                              ; =>This Inner Loop Header: Depth=1
	s_sethalt 5
	s_branch .LBB6_775
.LBB6_776:
	s_trap 2
	s_sendmsg_rtn_b32 s0, sendmsg(MSG_RTN_GET_DOORBELL)
	s_mov_b32 ttmp2, m0
	s_waitcnt lgkmcnt(0)
	s_and_b32 s0, s0, 0x3ff
	s_delay_alu instid0(SALU_CYCLE_1) | instskip(NEXT) | instid1(SALU_CYCLE_1)
	s_bitset1_b32 s0, 10
	s_mov_b32 m0, s0
	s_sendmsg sendmsg(MSG_INTERRUPT)
	s_mov_b32 m0, ttmp2
.LBB6_777:                              ; =>This Inner Loop Header: Depth=1
	s_sethalt 5
	s_branch .LBB6_777
.LBB6_778:
	s_trap 2
	s_sendmsg_rtn_b32 s0, sendmsg(MSG_RTN_GET_DOORBELL)
	s_mov_b32 ttmp2, m0
	s_waitcnt lgkmcnt(0)
	s_and_b32 s0, s0, 0x3ff
	s_delay_alu instid0(SALU_CYCLE_1) | instskip(NEXT) | instid1(SALU_CYCLE_1)
	s_bitset1_b32 s0, 10
	s_mov_b32 m0, s0
	s_sendmsg sendmsg(MSG_INTERRUPT)
	s_mov_b32 m0, ttmp2
.LBB6_779:                              ; =>This Inner Loop Header: Depth=1
	s_sethalt 5
	s_branch .LBB6_779
.LBB6_780:
	s_trap 2
	s_sendmsg_rtn_b32 s0, sendmsg(MSG_RTN_GET_DOORBELL)
	s_mov_b32 ttmp2, m0
	s_waitcnt lgkmcnt(0)
	s_and_b32 s0, s0, 0x3ff
	s_delay_alu instid0(SALU_CYCLE_1) | instskip(NEXT) | instid1(SALU_CYCLE_1)
	s_bitset1_b32 s0, 10
	s_mov_b32 m0, s0
	s_sendmsg sendmsg(MSG_INTERRUPT)
	s_mov_b32 m0, ttmp2
.LBB6_781:                              ; =>This Inner Loop Header: Depth=1
	s_sethalt 5
	s_branch .LBB6_781
.LBB6_782:
	s_trap 2
	s_sendmsg_rtn_b32 s0, sendmsg(MSG_RTN_GET_DOORBELL)
	s_mov_b32 ttmp2, m0
	s_waitcnt lgkmcnt(0)
	s_and_b32 s0, s0, 0x3ff
	s_delay_alu instid0(SALU_CYCLE_1) | instskip(NEXT) | instid1(SALU_CYCLE_1)
	s_bitset1_b32 s0, 10
	s_mov_b32 m0, s0
	s_sendmsg sendmsg(MSG_INTERRUPT)
	s_mov_b32 m0, ttmp2
.LBB6_783:                              ; =>This Inner Loop Header: Depth=1
	s_sethalt 5
	s_branch .LBB6_783
.LBB6_784:
	s_trap 2
	s_sendmsg_rtn_b32 s0, sendmsg(MSG_RTN_GET_DOORBELL)
	s_mov_b32 ttmp2, m0
	s_waitcnt lgkmcnt(0)
	s_and_b32 s0, s0, 0x3ff
	s_delay_alu instid0(SALU_CYCLE_1) | instskip(NEXT) | instid1(SALU_CYCLE_1)
	s_bitset1_b32 s0, 10
	s_mov_b32 m0, s0
	s_sendmsg sendmsg(MSG_INTERRUPT)
	s_mov_b32 m0, ttmp2
.LBB6_785:                              ; =>This Inner Loop Header: Depth=1
	s_sethalt 5
	s_branch .LBB6_785
.LBB6_786:
	s_trap 2
	s_sendmsg_rtn_b32 s0, sendmsg(MSG_RTN_GET_DOORBELL)
	s_mov_b32 ttmp2, m0
	s_waitcnt lgkmcnt(0)
	s_and_b32 s0, s0, 0x3ff
	s_delay_alu instid0(SALU_CYCLE_1) | instskip(NEXT) | instid1(SALU_CYCLE_1)
	s_bitset1_b32 s0, 10
	s_mov_b32 m0, s0
	s_sendmsg sendmsg(MSG_INTERRUPT)
	s_mov_b32 m0, ttmp2
.LBB6_787:                              ; =>This Inner Loop Header: Depth=1
	s_sethalt 5
	s_branch .LBB6_787
.LBB6_788:
	s_trap 2
	s_sendmsg_rtn_b32 s0, sendmsg(MSG_RTN_GET_DOORBELL)
	s_mov_b32 ttmp2, m0
	s_waitcnt lgkmcnt(0)
	s_and_b32 s0, s0, 0x3ff
	s_delay_alu instid0(SALU_CYCLE_1) | instskip(NEXT) | instid1(SALU_CYCLE_1)
	s_bitset1_b32 s0, 10
	s_mov_b32 m0, s0
	s_sendmsg sendmsg(MSG_INTERRUPT)
	s_mov_b32 m0, ttmp2
.LBB6_789:                              ; =>This Inner Loop Header: Depth=1
	s_sethalt 5
	s_branch .LBB6_789
.LBB6_790:
	s_trap 2
	s_sendmsg_rtn_b32 s0, sendmsg(MSG_RTN_GET_DOORBELL)
	s_mov_b32 ttmp2, m0
	s_waitcnt lgkmcnt(0)
	s_and_b32 s0, s0, 0x3ff
	s_delay_alu instid0(SALU_CYCLE_1) | instskip(NEXT) | instid1(SALU_CYCLE_1)
	s_bitset1_b32 s0, 10
	s_mov_b32 m0, s0
	s_sendmsg sendmsg(MSG_INTERRUPT)
	s_mov_b32 m0, ttmp2
.LBB6_791:                              ; =>This Inner Loop Header: Depth=1
	s_sethalt 5
	s_branch .LBB6_791
.LBB6_792:
	s_trap 2
	s_sendmsg_rtn_b32 s0, sendmsg(MSG_RTN_GET_DOORBELL)
	s_mov_b32 ttmp2, m0
	s_waitcnt lgkmcnt(0)
	s_and_b32 s0, s0, 0x3ff
	s_delay_alu instid0(SALU_CYCLE_1) | instskip(NEXT) | instid1(SALU_CYCLE_1)
	s_bitset1_b32 s0, 10
	s_mov_b32 m0, s0
	s_sendmsg sendmsg(MSG_INTERRUPT)
	s_mov_b32 m0, ttmp2
.LBB6_793:                              ; =>This Inner Loop Header: Depth=1
	s_sethalt 5
	s_branch .LBB6_793
.LBB6_794:
	s_trap 2
	s_sendmsg_rtn_b32 s0, sendmsg(MSG_RTN_GET_DOORBELL)
	s_mov_b32 ttmp2, m0
	s_waitcnt lgkmcnt(0)
	s_and_b32 s0, s0, 0x3ff
	s_delay_alu instid0(SALU_CYCLE_1) | instskip(NEXT) | instid1(SALU_CYCLE_1)
	s_bitset1_b32 s0, 10
	s_mov_b32 m0, s0
	s_sendmsg sendmsg(MSG_INTERRUPT)
	s_mov_b32 m0, ttmp2
.LBB6_795:                              ; =>This Inner Loop Header: Depth=1
	s_sethalt 5
	s_branch .LBB6_795
.LBB6_796:
	s_trap 2
	s_sendmsg_rtn_b32 s0, sendmsg(MSG_RTN_GET_DOORBELL)
	s_mov_b32 ttmp2, m0
	s_waitcnt lgkmcnt(0)
	s_and_b32 s0, s0, 0x3ff
	s_delay_alu instid0(SALU_CYCLE_1) | instskip(NEXT) | instid1(SALU_CYCLE_1)
	s_bitset1_b32 s0, 10
	s_mov_b32 m0, s0
	s_sendmsg sendmsg(MSG_INTERRUPT)
	s_mov_b32 m0, ttmp2
.LBB6_797:                              ; =>This Inner Loop Header: Depth=1
	s_sethalt 5
	s_branch .LBB6_797
.LBB6_798:
	s_trap 2
	s_sendmsg_rtn_b32 s0, sendmsg(MSG_RTN_GET_DOORBELL)
	s_mov_b32 ttmp2, m0
	s_waitcnt lgkmcnt(0)
	s_and_b32 s0, s0, 0x3ff
	s_delay_alu instid0(SALU_CYCLE_1) | instskip(NEXT) | instid1(SALU_CYCLE_1)
	s_bitset1_b32 s0, 10
	s_mov_b32 m0, s0
	s_sendmsg sendmsg(MSG_INTERRUPT)
	s_mov_b32 m0, ttmp2
.LBB6_799:                              ; =>This Inner Loop Header: Depth=1
	s_sethalt 5
	s_branch .LBB6_799
.LBB6_800:
	s_trap 2
	s_sendmsg_rtn_b32 s0, sendmsg(MSG_RTN_GET_DOORBELL)
	s_mov_b32 ttmp2, m0
	s_waitcnt lgkmcnt(0)
	s_and_b32 s0, s0, 0x3ff
	s_delay_alu instid0(SALU_CYCLE_1) | instskip(NEXT) | instid1(SALU_CYCLE_1)
	s_bitset1_b32 s0, 10
	s_mov_b32 m0, s0
	s_sendmsg sendmsg(MSG_INTERRUPT)
	s_mov_b32 m0, ttmp2
.LBB6_801:                              ; =>This Inner Loop Header: Depth=1
	s_sethalt 5
	s_branch .LBB6_801
.LBB6_802:
	s_trap 2
	s_sendmsg_rtn_b32 s0, sendmsg(MSG_RTN_GET_DOORBELL)
	s_mov_b32 ttmp2, m0
	s_waitcnt lgkmcnt(0)
	s_and_b32 s0, s0, 0x3ff
	s_delay_alu instid0(SALU_CYCLE_1) | instskip(NEXT) | instid1(SALU_CYCLE_1)
	s_bitset1_b32 s0, 10
	s_mov_b32 m0, s0
	s_sendmsg sendmsg(MSG_INTERRUPT)
	s_mov_b32 m0, ttmp2
.LBB6_803:                              ; =>This Inner Loop Header: Depth=1
	s_sethalt 5
	s_branch .LBB6_803
.LBB6_804:
	s_trap 2
	s_sendmsg_rtn_b32 s0, sendmsg(MSG_RTN_GET_DOORBELL)
	s_mov_b32 ttmp2, m0
	s_waitcnt lgkmcnt(0)
	s_and_b32 s0, s0, 0x3ff
	s_delay_alu instid0(SALU_CYCLE_1) | instskip(NEXT) | instid1(SALU_CYCLE_1)
	s_bitset1_b32 s0, 10
	s_mov_b32 m0, s0
	s_sendmsg sendmsg(MSG_INTERRUPT)
	s_mov_b32 m0, ttmp2
.LBB6_805:                              ; =>This Inner Loop Header: Depth=1
	s_sethalt 5
	s_branch .LBB6_805
.LBB6_806:
	s_trap 2
	s_sendmsg_rtn_b32 s0, sendmsg(MSG_RTN_GET_DOORBELL)
	s_mov_b32 ttmp2, m0
	s_waitcnt lgkmcnt(0)
	s_and_b32 s0, s0, 0x3ff
	s_delay_alu instid0(SALU_CYCLE_1) | instskip(NEXT) | instid1(SALU_CYCLE_1)
	s_bitset1_b32 s0, 10
	s_mov_b32 m0, s0
	s_sendmsg sendmsg(MSG_INTERRUPT)
	s_mov_b32 m0, ttmp2
.LBB6_807:                              ; =>This Inner Loop Header: Depth=1
	s_sethalt 5
	s_branch .LBB6_807
.LBB6_808:
	s_trap 2
	s_sendmsg_rtn_b32 s0, sendmsg(MSG_RTN_GET_DOORBELL)
	s_mov_b32 ttmp2, m0
	s_waitcnt lgkmcnt(0)
	s_and_b32 s0, s0, 0x3ff
	s_delay_alu instid0(SALU_CYCLE_1) | instskip(NEXT) | instid1(SALU_CYCLE_1)
	s_bitset1_b32 s0, 10
	s_mov_b32 m0, s0
	s_sendmsg sendmsg(MSG_INTERRUPT)
	s_mov_b32 m0, ttmp2
.LBB6_809:                              ; =>This Inner Loop Header: Depth=1
	s_sethalt 5
	s_branch .LBB6_809
.LBB6_810:
	s_trap 2
	s_sendmsg_rtn_b32 s0, sendmsg(MSG_RTN_GET_DOORBELL)
	s_mov_b32 ttmp2, m0
	s_waitcnt lgkmcnt(0)
	s_and_b32 s0, s0, 0x3ff
	s_delay_alu instid0(SALU_CYCLE_1) | instskip(NEXT) | instid1(SALU_CYCLE_1)
	s_bitset1_b32 s0, 10
	s_mov_b32 m0, s0
	s_sendmsg sendmsg(MSG_INTERRUPT)
	s_mov_b32 m0, ttmp2
.LBB6_811:                              ; =>This Inner Loop Header: Depth=1
	s_sethalt 5
	s_branch .LBB6_811
.LBB6_812:
	s_trap 2
	s_sendmsg_rtn_b32 s0, sendmsg(MSG_RTN_GET_DOORBELL)
	s_mov_b32 ttmp2, m0
	s_waitcnt lgkmcnt(0)
	s_and_b32 s0, s0, 0x3ff
	s_delay_alu instid0(SALU_CYCLE_1) | instskip(NEXT) | instid1(SALU_CYCLE_1)
	s_bitset1_b32 s0, 10
	s_mov_b32 m0, s0
	s_sendmsg sendmsg(MSG_INTERRUPT)
	s_mov_b32 m0, ttmp2
.LBB6_813:                              ; =>This Inner Loop Header: Depth=1
	s_sethalt 5
	s_branch .LBB6_813
.LBB6_814:
	s_trap 2
	s_sendmsg_rtn_b32 s0, sendmsg(MSG_RTN_GET_DOORBELL)
	s_mov_b32 ttmp2, m0
	s_waitcnt lgkmcnt(0)
	s_and_b32 s0, s0, 0x3ff
	s_delay_alu instid0(SALU_CYCLE_1) | instskip(NEXT) | instid1(SALU_CYCLE_1)
	s_bitset1_b32 s0, 10
	s_mov_b32 m0, s0
	s_sendmsg sendmsg(MSG_INTERRUPT)
	s_mov_b32 m0, ttmp2
.LBB6_815:                              ; =>This Inner Loop Header: Depth=1
	s_sethalt 5
	s_branch .LBB6_815
.LBB6_816:
	s_trap 2
	s_sendmsg_rtn_b32 s0, sendmsg(MSG_RTN_GET_DOORBELL)
	s_mov_b32 ttmp2, m0
	s_waitcnt lgkmcnt(0)
	s_and_b32 s0, s0, 0x3ff
	s_delay_alu instid0(SALU_CYCLE_1) | instskip(NEXT) | instid1(SALU_CYCLE_1)
	s_bitset1_b32 s0, 10
	s_mov_b32 m0, s0
	s_sendmsg sendmsg(MSG_INTERRUPT)
	s_mov_b32 m0, ttmp2
.LBB6_817:                              ; =>This Inner Loop Header: Depth=1
	s_sethalt 5
	s_branch .LBB6_817
.LBB6_818:
	s_trap 2
	s_sendmsg_rtn_b32 s0, sendmsg(MSG_RTN_GET_DOORBELL)
	s_mov_b32 ttmp2, m0
	s_waitcnt lgkmcnt(0)
	s_and_b32 s0, s0, 0x3ff
	s_delay_alu instid0(SALU_CYCLE_1) | instskip(NEXT) | instid1(SALU_CYCLE_1)
	s_bitset1_b32 s0, 10
	s_mov_b32 m0, s0
	s_sendmsg sendmsg(MSG_INTERRUPT)
	s_mov_b32 m0, ttmp2
.LBB6_819:                              ; =>This Inner Loop Header: Depth=1
	s_sethalt 5
	s_branch .LBB6_819
.LBB6_820:
	s_trap 2
	s_sendmsg_rtn_b32 s0, sendmsg(MSG_RTN_GET_DOORBELL)
	s_mov_b32 ttmp2, m0
	s_waitcnt lgkmcnt(0)
	s_and_b32 s0, s0, 0x3ff
	s_delay_alu instid0(SALU_CYCLE_1) | instskip(NEXT) | instid1(SALU_CYCLE_1)
	s_bitset1_b32 s0, 10
	s_mov_b32 m0, s0
	s_sendmsg sendmsg(MSG_INTERRUPT)
	s_mov_b32 m0, ttmp2
.LBB6_821:                              ; =>This Inner Loop Header: Depth=1
	s_sethalt 5
	s_branch .LBB6_821
.LBB6_822:
	s_trap 2
	s_sendmsg_rtn_b32 s0, sendmsg(MSG_RTN_GET_DOORBELL)
	s_mov_b32 ttmp2, m0
	s_waitcnt lgkmcnt(0)
	s_and_b32 s0, s0, 0x3ff
	s_delay_alu instid0(SALU_CYCLE_1) | instskip(NEXT) | instid1(SALU_CYCLE_1)
	s_bitset1_b32 s0, 10
	s_mov_b32 m0, s0
	s_sendmsg sendmsg(MSG_INTERRUPT)
	s_mov_b32 m0, ttmp2
.LBB6_823:                              ; =>This Inner Loop Header: Depth=1
	s_sethalt 5
	s_branch .LBB6_823
.LBB6_824:
	s_trap 2
	s_sendmsg_rtn_b32 s0, sendmsg(MSG_RTN_GET_DOORBELL)
	s_mov_b32 ttmp2, m0
	s_waitcnt lgkmcnt(0)
	s_and_b32 s0, s0, 0x3ff
	s_delay_alu instid0(SALU_CYCLE_1) | instskip(NEXT) | instid1(SALU_CYCLE_1)
	s_bitset1_b32 s0, 10
	s_mov_b32 m0, s0
	s_sendmsg sendmsg(MSG_INTERRUPT)
	s_mov_b32 m0, ttmp2
.LBB6_825:                              ; =>This Inner Loop Header: Depth=1
	s_sethalt 5
	s_branch .LBB6_825
.LBB6_826:
	s_trap 2
	s_sendmsg_rtn_b32 s0, sendmsg(MSG_RTN_GET_DOORBELL)
	s_mov_b32 ttmp2, m0
	s_waitcnt lgkmcnt(0)
	s_and_b32 s0, s0, 0x3ff
	s_delay_alu instid0(SALU_CYCLE_1) | instskip(NEXT) | instid1(SALU_CYCLE_1)
	s_bitset1_b32 s0, 10
	s_mov_b32 m0, s0
	s_sendmsg sendmsg(MSG_INTERRUPT)
	s_mov_b32 m0, ttmp2
.LBB6_827:                              ; =>This Inner Loop Header: Depth=1
	s_sethalt 5
	s_branch .LBB6_827
.LBB6_828:
	s_trap 2
	s_sendmsg_rtn_b32 s0, sendmsg(MSG_RTN_GET_DOORBELL)
	s_mov_b32 ttmp2, m0
	s_waitcnt lgkmcnt(0)
	s_and_b32 s0, s0, 0x3ff
	s_delay_alu instid0(SALU_CYCLE_1) | instskip(NEXT) | instid1(SALU_CYCLE_1)
	s_bitset1_b32 s0, 10
	s_mov_b32 m0, s0
	s_sendmsg sendmsg(MSG_INTERRUPT)
	s_mov_b32 m0, ttmp2
.LBB6_829:                              ; =>This Inner Loop Header: Depth=1
	s_sethalt 5
	s_branch .LBB6_829
.LBB6_830:
	s_trap 2
	s_sendmsg_rtn_b32 s0, sendmsg(MSG_RTN_GET_DOORBELL)
	s_mov_b32 ttmp2, m0
	s_waitcnt lgkmcnt(0)
	s_and_b32 s0, s0, 0x3ff
	s_delay_alu instid0(SALU_CYCLE_1) | instskip(NEXT) | instid1(SALU_CYCLE_1)
	s_bitset1_b32 s0, 10
	s_mov_b32 m0, s0
	s_sendmsg sendmsg(MSG_INTERRUPT)
	s_mov_b32 m0, ttmp2
.LBB6_831:                              ; =>This Inner Loop Header: Depth=1
	s_sethalt 5
	s_branch .LBB6_831
.LBB6_832:
	s_trap 2
	s_sendmsg_rtn_b32 s0, sendmsg(MSG_RTN_GET_DOORBELL)
	s_mov_b32 ttmp2, m0
	s_waitcnt lgkmcnt(0)
	s_and_b32 s0, s0, 0x3ff
	s_delay_alu instid0(SALU_CYCLE_1) | instskip(NEXT) | instid1(SALU_CYCLE_1)
	s_bitset1_b32 s0, 10
	s_mov_b32 m0, s0
	s_sendmsg sendmsg(MSG_INTERRUPT)
	s_mov_b32 m0, ttmp2
.LBB6_833:                              ; =>This Inner Loop Header: Depth=1
	s_sethalt 5
	s_branch .LBB6_833
.LBB6_834:
	s_trap 2
	s_sendmsg_rtn_b32 s0, sendmsg(MSG_RTN_GET_DOORBELL)
	s_mov_b32 ttmp2, m0
	s_waitcnt lgkmcnt(0)
	s_and_b32 s0, s0, 0x3ff
	s_delay_alu instid0(SALU_CYCLE_1) | instskip(NEXT) | instid1(SALU_CYCLE_1)
	s_bitset1_b32 s0, 10
	s_mov_b32 m0, s0
	s_sendmsg sendmsg(MSG_INTERRUPT)
	s_mov_b32 m0, ttmp2
.LBB6_835:                              ; =>This Inner Loop Header: Depth=1
	s_sethalt 5
	s_branch .LBB6_835
.LBB6_836:
	s_trap 2
	s_sendmsg_rtn_b32 s0, sendmsg(MSG_RTN_GET_DOORBELL)
	s_mov_b32 ttmp2, m0
	s_waitcnt lgkmcnt(0)
	s_and_b32 s0, s0, 0x3ff
	s_delay_alu instid0(SALU_CYCLE_1) | instskip(NEXT) | instid1(SALU_CYCLE_1)
	s_bitset1_b32 s0, 10
	s_mov_b32 m0, s0
	s_sendmsg sendmsg(MSG_INTERRUPT)
	s_mov_b32 m0, ttmp2
.LBB6_837:                              ; =>This Inner Loop Header: Depth=1
	s_sethalt 5
	s_branch .LBB6_837
.LBB6_838:
	s_trap 2
	s_sendmsg_rtn_b32 s0, sendmsg(MSG_RTN_GET_DOORBELL)
	s_mov_b32 ttmp2, m0
	s_waitcnt lgkmcnt(0)
	s_and_b32 s0, s0, 0x3ff
	s_delay_alu instid0(SALU_CYCLE_1) | instskip(NEXT) | instid1(SALU_CYCLE_1)
	s_bitset1_b32 s0, 10
	s_mov_b32 m0, s0
	s_sendmsg sendmsg(MSG_INTERRUPT)
	s_mov_b32 m0, ttmp2
.LBB6_839:                              ; =>This Inner Loop Header: Depth=1
	s_sethalt 5
	s_branch .LBB6_839
.LBB6_840:
	s_trap 2
	s_sendmsg_rtn_b32 s0, sendmsg(MSG_RTN_GET_DOORBELL)
	s_mov_b32 ttmp2, m0
	s_waitcnt lgkmcnt(0)
	s_and_b32 s0, s0, 0x3ff
	s_delay_alu instid0(SALU_CYCLE_1) | instskip(NEXT) | instid1(SALU_CYCLE_1)
	s_bitset1_b32 s0, 10
	s_mov_b32 m0, s0
	s_sendmsg sendmsg(MSG_INTERRUPT)
	s_mov_b32 m0, ttmp2
.LBB6_841:                              ; =>This Inner Loop Header: Depth=1
	s_sethalt 5
	s_branch .LBB6_841
.LBB6_842:
	s_trap 2
	s_sendmsg_rtn_b32 s0, sendmsg(MSG_RTN_GET_DOORBELL)
	s_mov_b32 ttmp2, m0
	s_waitcnt lgkmcnt(0)
	s_and_b32 s0, s0, 0x3ff
	s_delay_alu instid0(SALU_CYCLE_1) | instskip(NEXT) | instid1(SALU_CYCLE_1)
	s_bitset1_b32 s0, 10
	s_mov_b32 m0, s0
	s_sendmsg sendmsg(MSG_INTERRUPT)
	s_mov_b32 m0, ttmp2
.LBB6_843:                              ; =>This Inner Loop Header: Depth=1
	s_sethalt 5
	s_branch .LBB6_843
.LBB6_844:
	s_trap 2
	s_sendmsg_rtn_b32 s0, sendmsg(MSG_RTN_GET_DOORBELL)
	s_mov_b32 ttmp2, m0
	s_waitcnt lgkmcnt(0)
	s_and_b32 s0, s0, 0x3ff
	s_delay_alu instid0(SALU_CYCLE_1) | instskip(NEXT) | instid1(SALU_CYCLE_1)
	s_bitset1_b32 s0, 10
	s_mov_b32 m0, s0
	s_sendmsg sendmsg(MSG_INTERRUPT)
	s_mov_b32 m0, ttmp2
.LBB6_845:                              ; =>This Inner Loop Header: Depth=1
	s_sethalt 5
	s_branch .LBB6_845
.LBB6_846:
	s_trap 2
	s_sendmsg_rtn_b32 s0, sendmsg(MSG_RTN_GET_DOORBELL)
	s_mov_b32 ttmp2, m0
	s_waitcnt lgkmcnt(0)
	s_and_b32 s0, s0, 0x3ff
	s_delay_alu instid0(SALU_CYCLE_1) | instskip(NEXT) | instid1(SALU_CYCLE_1)
	s_bitset1_b32 s0, 10
	s_mov_b32 m0, s0
	s_sendmsg sendmsg(MSG_INTERRUPT)
	s_mov_b32 m0, ttmp2
.LBB6_847:                              ; =>This Inner Loop Header: Depth=1
	s_sethalt 5
	s_branch .LBB6_847
.LBB6_848:
	s_trap 2
	s_sendmsg_rtn_b32 s0, sendmsg(MSG_RTN_GET_DOORBELL)
	s_mov_b32 ttmp2, m0
	s_waitcnt lgkmcnt(0)
	s_and_b32 s0, s0, 0x3ff
	s_delay_alu instid0(SALU_CYCLE_1) | instskip(NEXT) | instid1(SALU_CYCLE_1)
	s_bitset1_b32 s0, 10
	s_mov_b32 m0, s0
	s_sendmsg sendmsg(MSG_INTERRUPT)
	s_mov_b32 m0, ttmp2
.LBB6_849:                              ; =>This Inner Loop Header: Depth=1
	s_sethalt 5
	s_branch .LBB6_849
.LBB6_850:
	s_trap 2
	s_sendmsg_rtn_b32 s0, sendmsg(MSG_RTN_GET_DOORBELL)
	s_mov_b32 ttmp2, m0
	s_waitcnt lgkmcnt(0)
	s_and_b32 s0, s0, 0x3ff
	s_delay_alu instid0(SALU_CYCLE_1) | instskip(NEXT) | instid1(SALU_CYCLE_1)
	s_bitset1_b32 s0, 10
	s_mov_b32 m0, s0
	s_sendmsg sendmsg(MSG_INTERRUPT)
	s_mov_b32 m0, ttmp2
.LBB6_851:                              ; =>This Inner Loop Header: Depth=1
	s_sethalt 5
	s_branch .LBB6_851
.LBB6_852:
	s_trap 2
	s_sendmsg_rtn_b32 s0, sendmsg(MSG_RTN_GET_DOORBELL)
	s_mov_b32 ttmp2, m0
	s_waitcnt lgkmcnt(0)
	s_and_b32 s0, s0, 0x3ff
	s_delay_alu instid0(SALU_CYCLE_1) | instskip(NEXT) | instid1(SALU_CYCLE_1)
	s_bitset1_b32 s0, 10
	s_mov_b32 m0, s0
	s_sendmsg sendmsg(MSG_INTERRUPT)
	s_mov_b32 m0, ttmp2
.LBB6_853:                              ; =>This Inner Loop Header: Depth=1
	s_sethalt 5
	s_branch .LBB6_853
.LBB6_854:
	s_trap 2
	s_sendmsg_rtn_b32 s0, sendmsg(MSG_RTN_GET_DOORBELL)
	s_mov_b32 ttmp2, m0
	s_waitcnt lgkmcnt(0)
	s_and_b32 s0, s0, 0x3ff
	s_delay_alu instid0(SALU_CYCLE_1) | instskip(NEXT) | instid1(SALU_CYCLE_1)
	s_bitset1_b32 s0, 10
	s_mov_b32 m0, s0
	s_sendmsg sendmsg(MSG_INTERRUPT)
	s_mov_b32 m0, ttmp2
.LBB6_855:                              ; =>This Inner Loop Header: Depth=1
	s_sethalt 5
	s_branch .LBB6_855
.LBB6_856:
	s_trap 2
	s_sendmsg_rtn_b32 s0, sendmsg(MSG_RTN_GET_DOORBELL)
	s_mov_b32 ttmp2, m0
	s_waitcnt lgkmcnt(0)
	s_and_b32 s0, s0, 0x3ff
	s_delay_alu instid0(SALU_CYCLE_1) | instskip(NEXT) | instid1(SALU_CYCLE_1)
	s_bitset1_b32 s0, 10
	s_mov_b32 m0, s0
	s_sendmsg sendmsg(MSG_INTERRUPT)
	s_mov_b32 m0, ttmp2
.LBB6_857:                              ; =>This Inner Loop Header: Depth=1
	s_sethalt 5
	s_branch .LBB6_857
.LBB6_858:
	s_trap 2
	s_sendmsg_rtn_b32 s0, sendmsg(MSG_RTN_GET_DOORBELL)
	s_mov_b32 ttmp2, m0
	s_waitcnt lgkmcnt(0)
	s_and_b32 s0, s0, 0x3ff
	s_delay_alu instid0(SALU_CYCLE_1) | instskip(NEXT) | instid1(SALU_CYCLE_1)
	s_bitset1_b32 s0, 10
	s_mov_b32 m0, s0
	s_sendmsg sendmsg(MSG_INTERRUPT)
	s_mov_b32 m0, ttmp2
.LBB6_859:                              ; =>This Inner Loop Header: Depth=1
	s_sethalt 5
	s_branch .LBB6_859
.LBB6_860:
	s_trap 2
	s_sendmsg_rtn_b32 s0, sendmsg(MSG_RTN_GET_DOORBELL)
	s_mov_b32 ttmp2, m0
	s_waitcnt lgkmcnt(0)
	s_and_b32 s0, s0, 0x3ff
	s_delay_alu instid0(SALU_CYCLE_1) | instskip(NEXT) | instid1(SALU_CYCLE_1)
	s_bitset1_b32 s0, 10
	s_mov_b32 m0, s0
	s_sendmsg sendmsg(MSG_INTERRUPT)
	s_mov_b32 m0, ttmp2
.LBB6_861:                              ; =>This Inner Loop Header: Depth=1
	s_sethalt 5
	s_branch .LBB6_861
.LBB6_862:
	s_trap 2
	s_sendmsg_rtn_b32 s0, sendmsg(MSG_RTN_GET_DOORBELL)
	s_mov_b32 ttmp2, m0
	s_waitcnt lgkmcnt(0)
	s_and_b32 s0, s0, 0x3ff
	s_delay_alu instid0(SALU_CYCLE_1) | instskip(NEXT) | instid1(SALU_CYCLE_1)
	s_bitset1_b32 s0, 10
	s_mov_b32 m0, s0
	s_sendmsg sendmsg(MSG_INTERRUPT)
	s_mov_b32 m0, ttmp2
.LBB6_863:                              ; =>This Inner Loop Header: Depth=1
	s_sethalt 5
	s_branch .LBB6_863
.LBB6_864:
	s_trap 2
	s_sendmsg_rtn_b32 s0, sendmsg(MSG_RTN_GET_DOORBELL)
	s_mov_b32 ttmp2, m0
	s_waitcnt lgkmcnt(0)
	s_and_b32 s0, s0, 0x3ff
	s_delay_alu instid0(SALU_CYCLE_1) | instskip(NEXT) | instid1(SALU_CYCLE_1)
	s_bitset1_b32 s0, 10
	s_mov_b32 m0, s0
	s_sendmsg sendmsg(MSG_INTERRUPT)
	s_mov_b32 m0, ttmp2
.LBB6_865:                              ; =>This Inner Loop Header: Depth=1
	s_sethalt 5
	s_branch .LBB6_865
.LBB6_866:
	s_trap 2
	s_sendmsg_rtn_b32 s0, sendmsg(MSG_RTN_GET_DOORBELL)
	s_mov_b32 ttmp2, m0
	s_waitcnt lgkmcnt(0)
	s_and_b32 s0, s0, 0x3ff
	s_delay_alu instid0(SALU_CYCLE_1) | instskip(NEXT) | instid1(SALU_CYCLE_1)
	s_bitset1_b32 s0, 10
	s_mov_b32 m0, s0
	s_sendmsg sendmsg(MSG_INTERRUPT)
	s_mov_b32 m0, ttmp2
.LBB6_867:                              ; =>This Inner Loop Header: Depth=1
	s_sethalt 5
	s_branch .LBB6_867
.LBB6_868:
	s_trap 2
	s_sendmsg_rtn_b32 s0, sendmsg(MSG_RTN_GET_DOORBELL)
	s_mov_b32 ttmp2, m0
	s_waitcnt lgkmcnt(0)
	s_and_b32 s0, s0, 0x3ff
	s_delay_alu instid0(SALU_CYCLE_1) | instskip(NEXT) | instid1(SALU_CYCLE_1)
	s_bitset1_b32 s0, 10
	s_mov_b32 m0, s0
	s_sendmsg sendmsg(MSG_INTERRUPT)
	s_mov_b32 m0, ttmp2
.LBB6_869:                              ; =>This Inner Loop Header: Depth=1
	s_sethalt 5
	s_branch .LBB6_869
.LBB6_870:
	s_trap 2
	s_sendmsg_rtn_b32 s0, sendmsg(MSG_RTN_GET_DOORBELL)
	s_mov_b32 ttmp2, m0
	s_waitcnt lgkmcnt(0)
	s_and_b32 s0, s0, 0x3ff
	s_delay_alu instid0(SALU_CYCLE_1) | instskip(NEXT) | instid1(SALU_CYCLE_1)
	s_bitset1_b32 s0, 10
	s_mov_b32 m0, s0
	s_sendmsg sendmsg(MSG_INTERRUPT)
	s_mov_b32 m0, ttmp2
.LBB6_871:                              ; =>This Inner Loop Header: Depth=1
	s_sethalt 5
	s_branch .LBB6_871
.LBB6_872:
	s_or_b32 exec_lo, exec_lo, s4
	s_and_saveexec_b32 s4, s5
	s_delay_alu instid0(SALU_CYCLE_1)
	s_xor_b32 s4, exec_lo, s4
	s_cbranch_execz .LBB6_874
; %bb.873:
	v_mov_b32_e32 v0, 1
	ds_store_b32 v0, v0
	s_cbranch_execnz .LBB6_916
.LBB6_874:
	s_or_b32 exec_lo, exec_lo, s3
	;;#ASMSTART
	s_wakeup
	;;#ASMEND
.LBB6_875:
	s_or_b32 exec_lo, exec_lo, s2
.LBB6_876:
	s_and_not1_saveexec_b32 s1, s1
	s_cbranch_execz .LBB6_878
; %bb.877:
	s_waitcnt lgkmcnt(0)
	s_waitcnt_vscnt null, 0x0
	buffer_gl1_inv
	buffer_gl0_inv
	s_barrier
.LBB6_878:
	s_or_b32 exec_lo, exec_lo, s0
.LBB6_879:
	s_and_not1_saveexec_b32 s21, s13
	s_cbranch_execz .LBB6_881
; %bb.880:
	s_getpc_b64 s[0:1]
	s_add_u32 s0, s0, __PRETTY_FUNCTION__._ZN10PrimitivesIf8FuncProdIfE12FanSymmetricILi1EELi0E11ProtoSimpleILi1ELi1ELi0ELi4ELi0ELi0EELi0ELb0ELi0ELi0ELi0EEC2EiiPKiS8_PKvPvmhhhP15ncclDevWorkCollP14ncclDevWorkP2pii@rel32@lo+4
	s_addc_u32 s1, s1, __PRETTY_FUNCTION__._ZN10PrimitivesIf8FuncProdIfE12FanSymmetricILi1EELi0E11ProtoSimpleILi1ELi1ELi0ELi4ELi0ELi0EELi0ELb0ELi0ELi0ELi0EEC2EiiPKiS8_PKvPvmhhhP15ncclDevWorkCollP14ncclDevWorkP2pii@rel32@hi+12
	s_delay_alu instid0(SALU_CYCLE_1) | instskip(SKIP_3) | instid1(SALU_CYCLE_1)
	v_dual_mov_b32 v0, s0 :: v_dual_mov_b32 v1, s1
	s_getpc_b64 s[2:3]
	s_add_u32 s2, s2, __assert_fail@rel32@lo+4
	s_addc_u32 s3, s3, __assert_fail@rel32@hi+12
	s_swappc_b64 s[30:31], s[2:3]
	; divergent unreachable
.LBB6_881:
	s_or_b32 exec_lo, exec_lo, s21
	scratch_load_b32 v40, off, s33          ; 4-byte Folded Reload
	v_readlane_b32 s30, v41, 0
	v_readlane_b32 s31, v41, 1
	;; [unrolled: 1-line block ×3, first 2 shown]
	s_or_saveexec_b32 s1, -1
	scratch_load_b32 v41, off, s33 offset:4 ; 4-byte Folded Reload
	s_mov_b32 exec_lo, s1
	s_add_i32 s32, s32, -16
	s_mov_b32 s33, s0
	s_waitcnt vmcnt(0) lgkmcnt(0)
	s_setpc_b64 s[30:31]
.LBB6_882:
	s_trap 2
	s_sendmsg_rtn_b32 s0, sendmsg(MSG_RTN_GET_DOORBELL)
	s_mov_b32 ttmp2, m0
	s_waitcnt lgkmcnt(0)
	s_and_b32 s0, s0, 0x3ff
	s_delay_alu instid0(SALU_CYCLE_1) | instskip(NEXT) | instid1(SALU_CYCLE_1)
	s_bitset1_b32 s0, 10
	s_mov_b32 m0, s0
	s_sendmsg sendmsg(MSG_INTERRUPT)
	s_mov_b32 m0, ttmp2
.LBB6_883:                              ; =>This Inner Loop Header: Depth=1
	s_sethalt 5
	s_branch .LBB6_883
.LBB6_884:
	s_trap 2
	s_sendmsg_rtn_b32 s0, sendmsg(MSG_RTN_GET_DOORBELL)
	s_mov_b32 ttmp2, m0
	s_waitcnt lgkmcnt(0)
	s_and_b32 s0, s0, 0x3ff
	s_delay_alu instid0(SALU_CYCLE_1) | instskip(NEXT) | instid1(SALU_CYCLE_1)
	s_bitset1_b32 s0, 10
	s_mov_b32 m0, s0
	s_sendmsg sendmsg(MSG_INTERRUPT)
	s_mov_b32 m0, ttmp2
.LBB6_885:                              ; =>This Inner Loop Header: Depth=1
	s_sethalt 5
	s_branch .LBB6_885
.LBB6_886:
	s_trap 2
	s_sendmsg_rtn_b32 s0, sendmsg(MSG_RTN_GET_DOORBELL)
	s_mov_b32 ttmp2, m0
	s_waitcnt lgkmcnt(0)
	s_and_b32 s0, s0, 0x3ff
	s_delay_alu instid0(SALU_CYCLE_1) | instskip(NEXT) | instid1(SALU_CYCLE_1)
	s_bitset1_b32 s0, 10
	s_mov_b32 m0, s0
	s_sendmsg sendmsg(MSG_INTERRUPT)
	s_mov_b32 m0, ttmp2
.LBB6_887:                              ; =>This Inner Loop Header: Depth=1
	s_sethalt 5
	s_branch .LBB6_887
.LBB6_888:
	s_trap 2
	s_sendmsg_rtn_b32 s0, sendmsg(MSG_RTN_GET_DOORBELL)
	s_mov_b32 ttmp2, m0
	s_waitcnt lgkmcnt(0)
	s_and_b32 s0, s0, 0x3ff
	s_delay_alu instid0(SALU_CYCLE_1) | instskip(NEXT) | instid1(SALU_CYCLE_1)
	s_bitset1_b32 s0, 10
	s_mov_b32 m0, s0
	s_sendmsg sendmsg(MSG_INTERRUPT)
	s_mov_b32 m0, ttmp2
.LBB6_889:                              ; =>This Inner Loop Header: Depth=1
	s_sethalt 5
	s_branch .LBB6_889
.LBB6_890:
	s_trap 2
	s_sendmsg_rtn_b32 s0, sendmsg(MSG_RTN_GET_DOORBELL)
	s_mov_b32 ttmp2, m0
	s_waitcnt lgkmcnt(0)
	s_and_b32 s0, s0, 0x3ff
	s_delay_alu instid0(SALU_CYCLE_1) | instskip(NEXT) | instid1(SALU_CYCLE_1)
	s_bitset1_b32 s0, 10
	s_mov_b32 m0, s0
	s_sendmsg sendmsg(MSG_INTERRUPT)
	s_mov_b32 m0, ttmp2
.LBB6_891:                              ; =>This Inner Loop Header: Depth=1
	s_sethalt 5
	s_branch .LBB6_891
.LBB6_892:
	s_trap 2
	s_sendmsg_rtn_b32 s0, sendmsg(MSG_RTN_GET_DOORBELL)
	s_mov_b32 ttmp2, m0
	s_waitcnt lgkmcnt(0)
	s_and_b32 s0, s0, 0x3ff
	s_delay_alu instid0(SALU_CYCLE_1) | instskip(NEXT) | instid1(SALU_CYCLE_1)
	s_bitset1_b32 s0, 10
	s_mov_b32 m0, s0
	s_sendmsg sendmsg(MSG_INTERRUPT)
	s_mov_b32 m0, ttmp2
.LBB6_893:                              ; =>This Inner Loop Header: Depth=1
	s_sethalt 5
	s_branch .LBB6_893
.LBB6_894:
	s_trap 2
	s_sendmsg_rtn_b32 s0, sendmsg(MSG_RTN_GET_DOORBELL)
	s_mov_b32 ttmp2, m0
	s_waitcnt lgkmcnt(0)
	s_and_b32 s0, s0, 0x3ff
	s_delay_alu instid0(SALU_CYCLE_1) | instskip(NEXT) | instid1(SALU_CYCLE_1)
	s_bitset1_b32 s0, 10
	s_mov_b32 m0, s0
	s_sendmsg sendmsg(MSG_INTERRUPT)
	s_mov_b32 m0, ttmp2
.LBB6_895:                              ; =>This Inner Loop Header: Depth=1
	s_sethalt 5
	s_branch .LBB6_895
.LBB6_896:
	s_trap 2
	s_sendmsg_rtn_b32 s0, sendmsg(MSG_RTN_GET_DOORBELL)
	s_mov_b32 ttmp2, m0
	s_waitcnt lgkmcnt(0)
	s_and_b32 s0, s0, 0x3ff
	s_delay_alu instid0(SALU_CYCLE_1) | instskip(NEXT) | instid1(SALU_CYCLE_1)
	s_bitset1_b32 s0, 10
	s_mov_b32 m0, s0
	s_sendmsg sendmsg(MSG_INTERRUPT)
	s_mov_b32 m0, ttmp2
.LBB6_897:                              ; =>This Inner Loop Header: Depth=1
	s_sethalt 5
	s_branch .LBB6_897
.LBB6_898:
	s_trap 2
	s_sendmsg_rtn_b32 s0, sendmsg(MSG_RTN_GET_DOORBELL)
	s_mov_b32 ttmp2, m0
	s_waitcnt lgkmcnt(0)
	s_and_b32 s0, s0, 0x3ff
	s_delay_alu instid0(SALU_CYCLE_1) | instskip(NEXT) | instid1(SALU_CYCLE_1)
	s_bitset1_b32 s0, 10
	s_mov_b32 m0, s0
	s_sendmsg sendmsg(MSG_INTERRUPT)
	s_mov_b32 m0, ttmp2
.LBB6_899:                              ; =>This Inner Loop Header: Depth=1
	s_sethalt 5
	s_branch .LBB6_899
.LBB6_900:
	s_trap 2
	s_sendmsg_rtn_b32 s0, sendmsg(MSG_RTN_GET_DOORBELL)
	s_mov_b32 ttmp2, m0
	s_waitcnt lgkmcnt(0)
	s_and_b32 s0, s0, 0x3ff
	s_delay_alu instid0(SALU_CYCLE_1) | instskip(NEXT) | instid1(SALU_CYCLE_1)
	s_bitset1_b32 s0, 10
	s_mov_b32 m0, s0
	s_sendmsg sendmsg(MSG_INTERRUPT)
	s_mov_b32 m0, ttmp2
.LBB6_901:                              ; =>This Inner Loop Header: Depth=1
	s_sethalt 5
	s_branch .LBB6_901
.LBB6_902:
	s_trap 2
	s_sendmsg_rtn_b32 s0, sendmsg(MSG_RTN_GET_DOORBELL)
	s_mov_b32 ttmp2, m0
	s_waitcnt lgkmcnt(0)
	s_and_b32 s0, s0, 0x3ff
	s_delay_alu instid0(SALU_CYCLE_1) | instskip(NEXT) | instid1(SALU_CYCLE_1)
	s_bitset1_b32 s0, 10
	s_mov_b32 m0, s0
	s_sendmsg sendmsg(MSG_INTERRUPT)
	s_mov_b32 m0, ttmp2
.LBB6_903:                              ; =>This Inner Loop Header: Depth=1
	s_sethalt 5
	s_branch .LBB6_903
.LBB6_904:
	s_trap 2
	s_sendmsg_rtn_b32 s0, sendmsg(MSG_RTN_GET_DOORBELL)
	s_mov_b32 ttmp2, m0
	s_waitcnt lgkmcnt(0)
	s_and_b32 s0, s0, 0x3ff
	s_delay_alu instid0(SALU_CYCLE_1) | instskip(NEXT) | instid1(SALU_CYCLE_1)
	s_bitset1_b32 s0, 10
	s_mov_b32 m0, s0
	s_sendmsg sendmsg(MSG_INTERRUPT)
	s_mov_b32 m0, ttmp2
.LBB6_905:                              ; =>This Inner Loop Header: Depth=1
	s_sethalt 5
	s_branch .LBB6_905
.LBB6_906:
	s_trap 2
	s_sendmsg_rtn_b32 s0, sendmsg(MSG_RTN_GET_DOORBELL)
	s_mov_b32 ttmp2, m0
	s_waitcnt lgkmcnt(0)
	s_and_b32 s0, s0, 0x3ff
	s_delay_alu instid0(SALU_CYCLE_1) | instskip(NEXT) | instid1(SALU_CYCLE_1)
	s_bitset1_b32 s0, 10
	s_mov_b32 m0, s0
	s_sendmsg sendmsg(MSG_INTERRUPT)
	s_mov_b32 m0, ttmp2
.LBB6_907:                              ; =>This Inner Loop Header: Depth=1
	s_sethalt 5
	s_branch .LBB6_907
.LBB6_908:
	s_trap 2
	s_sendmsg_rtn_b32 s0, sendmsg(MSG_RTN_GET_DOORBELL)
	s_mov_b32 ttmp2, m0
	s_waitcnt lgkmcnt(0)
	s_and_b32 s0, s0, 0x3ff
	s_delay_alu instid0(SALU_CYCLE_1) | instskip(NEXT) | instid1(SALU_CYCLE_1)
	s_bitset1_b32 s0, 10
	s_mov_b32 m0, s0
	s_sendmsg sendmsg(MSG_INTERRUPT)
	s_mov_b32 m0, ttmp2
.LBB6_909:                              ; =>This Inner Loop Header: Depth=1
	s_sethalt 5
	s_branch .LBB6_909
.LBB6_910:
	s_trap 2
	s_sendmsg_rtn_b32 s0, sendmsg(MSG_RTN_GET_DOORBELL)
	s_mov_b32 ttmp2, m0
	s_waitcnt lgkmcnt(0)
	s_and_b32 s0, s0, 0x3ff
	s_delay_alu instid0(SALU_CYCLE_1) | instskip(NEXT) | instid1(SALU_CYCLE_1)
	s_bitset1_b32 s0, 10
	s_mov_b32 m0, s0
	s_sendmsg sendmsg(MSG_INTERRUPT)
	s_mov_b32 m0, ttmp2
.LBB6_911:                              ; =>This Inner Loop Header: Depth=1
	s_sethalt 5
	s_branch .LBB6_911
.LBB6_912:
	s_trap 2
	s_sendmsg_rtn_b32 s0, sendmsg(MSG_RTN_GET_DOORBELL)
	s_mov_b32 ttmp2, m0
	s_waitcnt lgkmcnt(0)
	s_and_b32 s0, s0, 0x3ff
	s_delay_alu instid0(SALU_CYCLE_1) | instskip(NEXT) | instid1(SALU_CYCLE_1)
	s_bitset1_b32 s0, 10
	s_mov_b32 m0, s0
	s_sendmsg sendmsg(MSG_INTERRUPT)
	s_mov_b32 m0, ttmp2
.LBB6_913:                              ; =>This Inner Loop Header: Depth=1
	s_sethalt 5
	s_branch .LBB6_913
.LBB6_914:
	s_trap 2
	s_sendmsg_rtn_b32 s0, sendmsg(MSG_RTN_GET_DOORBELL)
	s_mov_b32 ttmp2, m0
	s_waitcnt lgkmcnt(0)
	s_and_b32 s0, s0, 0x3ff
	s_delay_alu instid0(SALU_CYCLE_1) | instskip(NEXT) | instid1(SALU_CYCLE_1)
	s_bitset1_b32 s0, 10
	s_mov_b32 m0, s0
	s_sendmsg sendmsg(MSG_INTERRUPT)
	s_mov_b32 m0, ttmp2
.LBB6_915:                              ; =>This Inner Loop Header: Depth=1
	s_sethalt 5
	s_branch .LBB6_915
.LBB6_916:
	s_trap 2
	s_sendmsg_rtn_b32 s0, sendmsg(MSG_RTN_GET_DOORBELL)
	s_mov_b32 ttmp2, m0
	s_waitcnt lgkmcnt(0)
	s_and_b32 s0, s0, 0x3ff
	s_delay_alu instid0(SALU_CYCLE_1) | instskip(NEXT) | instid1(SALU_CYCLE_1)
	s_bitset1_b32 s0, 10
	s_mov_b32 m0, s0
	s_sendmsg sendmsg(MSG_INTERRUPT)
	s_mov_b32 m0, ttmp2
.LBB6_917:                              ; =>This Inner Loop Header: Depth=1
	s_sethalt 5
	s_branch .LBB6_917
.LBB6_918:
	s_trap 2
	s_sendmsg_rtn_b32 s0, sendmsg(MSG_RTN_GET_DOORBELL)
	s_mov_b32 ttmp2, m0
	s_waitcnt lgkmcnt(0)
	s_and_b32 s0, s0, 0x3ff
	s_delay_alu instid0(SALU_CYCLE_1) | instskip(NEXT) | instid1(SALU_CYCLE_1)
	s_bitset1_b32 s0, 10
	s_mov_b32 m0, s0
	s_sendmsg sendmsg(MSG_INTERRUPT)
	s_mov_b32 m0, ttmp2
.LBB6_919:                              ; =>This Inner Loop Header: Depth=1
	s_sethalt 5
	s_branch .LBB6_919
.LBB6_920:
	s_trap 2
	s_sendmsg_rtn_b32 s0, sendmsg(MSG_RTN_GET_DOORBELL)
	s_mov_b32 ttmp2, m0
	s_waitcnt lgkmcnt(0)
	s_and_b32 s0, s0, 0x3ff
	s_delay_alu instid0(SALU_CYCLE_1) | instskip(NEXT) | instid1(SALU_CYCLE_1)
	s_bitset1_b32 s0, 10
	s_mov_b32 m0, s0
	s_sendmsg sendmsg(MSG_INTERRUPT)
	s_mov_b32 m0, ttmp2
.LBB6_921:                              ; =>This Inner Loop Header: Depth=1
	s_sethalt 5
	s_branch .LBB6_921
.LBB6_922:
	s_trap 2
	s_sendmsg_rtn_b32 s0, sendmsg(MSG_RTN_GET_DOORBELL)
	s_mov_b32 ttmp2, m0
	s_waitcnt lgkmcnt(0)
	s_and_b32 s0, s0, 0x3ff
	s_delay_alu instid0(SALU_CYCLE_1) | instskip(NEXT) | instid1(SALU_CYCLE_1)
	s_bitset1_b32 s0, 10
	s_mov_b32 m0, s0
	s_sendmsg sendmsg(MSG_INTERRUPT)
	s_mov_b32 m0, ttmp2
.LBB6_923:                              ; =>This Inner Loop Header: Depth=1
	s_sethalt 5
	s_branch .LBB6_923
.LBB6_924:
	s_trap 2
	s_sendmsg_rtn_b32 s0, sendmsg(MSG_RTN_GET_DOORBELL)
	s_mov_b32 ttmp2, m0
	s_waitcnt lgkmcnt(0)
	s_and_b32 s0, s0, 0x3ff
	s_delay_alu instid0(SALU_CYCLE_1) | instskip(NEXT) | instid1(SALU_CYCLE_1)
	s_bitset1_b32 s0, 10
	s_mov_b32 m0, s0
	s_sendmsg sendmsg(MSG_INTERRUPT)
	s_mov_b32 m0, ttmp2
.LBB6_925:                              ; =>This Inner Loop Header: Depth=1
	s_sethalt 5
	s_branch .LBB6_925
.LBB6_926:
	s_trap 2
	s_sendmsg_rtn_b32 s0, sendmsg(MSG_RTN_GET_DOORBELL)
	s_mov_b32 ttmp2, m0
	s_waitcnt lgkmcnt(0)
	s_and_b32 s0, s0, 0x3ff
	s_delay_alu instid0(SALU_CYCLE_1) | instskip(NEXT) | instid1(SALU_CYCLE_1)
	s_bitset1_b32 s0, 10
	s_mov_b32 m0, s0
	s_sendmsg sendmsg(MSG_INTERRUPT)
	s_mov_b32 m0, ttmp2
.LBB6_927:                              ; =>This Inner Loop Header: Depth=1
	s_sethalt 5
	s_branch .LBB6_927
.LBB6_928:
	s_trap 2
	s_sendmsg_rtn_b32 s0, sendmsg(MSG_RTN_GET_DOORBELL)
	s_mov_b32 ttmp2, m0
	s_waitcnt lgkmcnt(0)
	s_and_b32 s0, s0, 0x3ff
	s_delay_alu instid0(SALU_CYCLE_1) | instskip(NEXT) | instid1(SALU_CYCLE_1)
	s_bitset1_b32 s0, 10
	s_mov_b32 m0, s0
	s_sendmsg sendmsg(MSG_INTERRUPT)
	s_mov_b32 m0, ttmp2
.LBB6_929:                              ; =>This Inner Loop Header: Depth=1
	s_sethalt 5
	s_branch .LBB6_929
.LBB6_930:
	s_trap 2
	s_sendmsg_rtn_b32 s0, sendmsg(MSG_RTN_GET_DOORBELL)
	s_mov_b32 ttmp2, m0
	s_waitcnt lgkmcnt(0)
	s_and_b32 s0, s0, 0x3ff
	s_delay_alu instid0(SALU_CYCLE_1) | instskip(NEXT) | instid1(SALU_CYCLE_1)
	s_bitset1_b32 s0, 10
	s_mov_b32 m0, s0
	s_sendmsg sendmsg(MSG_INTERRUPT)
	s_mov_b32 m0, ttmp2
.LBB6_931:                              ; =>This Inner Loop Header: Depth=1
	s_sethalt 5
	s_branch .LBB6_931
.LBB6_932:
	s_trap 2
	s_sendmsg_rtn_b32 s0, sendmsg(MSG_RTN_GET_DOORBELL)
	s_mov_b32 ttmp2, m0
	s_waitcnt lgkmcnt(0)
	s_and_b32 s0, s0, 0x3ff
	s_delay_alu instid0(SALU_CYCLE_1) | instskip(NEXT) | instid1(SALU_CYCLE_1)
	s_bitset1_b32 s0, 10
	s_mov_b32 m0, s0
	s_sendmsg sendmsg(MSG_INTERRUPT)
	s_mov_b32 m0, ttmp2
.LBB6_933:                              ; =>This Inner Loop Header: Depth=1
	s_sethalt 5
	s_branch .LBB6_933
.LBB6_934:
	s_trap 2
	s_sendmsg_rtn_b32 s0, sendmsg(MSG_RTN_GET_DOORBELL)
	s_mov_b32 ttmp2, m0
	s_waitcnt lgkmcnt(0)
	s_and_b32 s0, s0, 0x3ff
	s_delay_alu instid0(SALU_CYCLE_1) | instskip(NEXT) | instid1(SALU_CYCLE_1)
	s_bitset1_b32 s0, 10
	s_mov_b32 m0, s0
	s_sendmsg sendmsg(MSG_INTERRUPT)
	s_mov_b32 m0, ttmp2
.LBB6_935:                              ; =>This Inner Loop Header: Depth=1
	s_sethalt 5
	s_branch .LBB6_935
.LBB6_936:
	s_trap 2
	s_sendmsg_rtn_b32 s0, sendmsg(MSG_RTN_GET_DOORBELL)
	s_mov_b32 ttmp2, m0
	s_waitcnt lgkmcnt(0)
	s_and_b32 s0, s0, 0x3ff
	s_delay_alu instid0(SALU_CYCLE_1) | instskip(NEXT) | instid1(SALU_CYCLE_1)
	s_bitset1_b32 s0, 10
	s_mov_b32 m0, s0
	s_sendmsg sendmsg(MSG_INTERRUPT)
	s_mov_b32 m0, ttmp2
.LBB6_937:                              ; =>This Inner Loop Header: Depth=1
	s_sethalt 5
	s_branch .LBB6_937
.LBB6_938:
	s_trap 2
	s_sendmsg_rtn_b32 s0, sendmsg(MSG_RTN_GET_DOORBELL)
	s_mov_b32 ttmp2, m0
	s_waitcnt lgkmcnt(0)
	s_and_b32 s0, s0, 0x3ff
	s_delay_alu instid0(SALU_CYCLE_1) | instskip(NEXT) | instid1(SALU_CYCLE_1)
	s_bitset1_b32 s0, 10
	s_mov_b32 m0, s0
	s_sendmsg sendmsg(MSG_INTERRUPT)
	s_mov_b32 m0, ttmp2
.LBB6_939:                              ; =>This Inner Loop Header: Depth=1
	s_sethalt 5
	s_branch .LBB6_939
.LBB6_940:
	s_trap 2
	s_sendmsg_rtn_b32 s0, sendmsg(MSG_RTN_GET_DOORBELL)
	s_mov_b32 ttmp2, m0
	s_waitcnt lgkmcnt(0)
	s_and_b32 s0, s0, 0x3ff
	s_delay_alu instid0(SALU_CYCLE_1) | instskip(NEXT) | instid1(SALU_CYCLE_1)
	s_bitset1_b32 s0, 10
	s_mov_b32 m0, s0
	s_sendmsg sendmsg(MSG_INTERRUPT)
	s_mov_b32 m0, ttmp2
.LBB6_941:                              ; =>This Inner Loop Header: Depth=1
	s_sethalt 5
	s_branch .LBB6_941
.LBB6_942:
	s_trap 2
	s_sendmsg_rtn_b32 s0, sendmsg(MSG_RTN_GET_DOORBELL)
	s_mov_b32 ttmp2, m0
	s_waitcnt lgkmcnt(0)
	s_and_b32 s0, s0, 0x3ff
	s_delay_alu instid0(SALU_CYCLE_1) | instskip(NEXT) | instid1(SALU_CYCLE_1)
	s_bitset1_b32 s0, 10
	s_mov_b32 m0, s0
	s_sendmsg sendmsg(MSG_INTERRUPT)
	s_mov_b32 m0, ttmp2
.LBB6_943:                              ; =>This Inner Loop Header: Depth=1
	s_sethalt 5
	s_branch .LBB6_943
.LBB6_944:
	s_trap 2
	s_sendmsg_rtn_b32 s0, sendmsg(MSG_RTN_GET_DOORBELL)
	s_mov_b32 ttmp2, m0
	s_waitcnt lgkmcnt(0)
	s_and_b32 s0, s0, 0x3ff
	s_delay_alu instid0(SALU_CYCLE_1) | instskip(NEXT) | instid1(SALU_CYCLE_1)
	s_bitset1_b32 s0, 10
	s_mov_b32 m0, s0
	s_sendmsg sendmsg(MSG_INTERRUPT)
	s_mov_b32 m0, ttmp2
.LBB6_945:                              ; =>This Inner Loop Header: Depth=1
	s_sethalt 5
	s_branch .LBB6_945
.Lfunc_end6:
	.size	_ZN12_GLOBAL__N_17runRingIf8FuncProdIfE11ProtoSimpleILi1ELi1ELi0ELi4ELi0ELi0EELi0ELi4ELi0EEEviiP15ncclDevWorkColl, .Lfunc_end6-_ZN12_GLOBAL__N_17runRingIf8FuncProdIfE11ProtoSimpleILi1ELi1ELi0ELi4ELi0ELi0EELi0ELi4ELi0EEEviiP15ncclDevWorkColl
                                        ; -- End function
	.section	.AMDGPU.csdata,"",@progbits
; Function info:
; codeLenInByte = 27640
; NumSgprs: 36
; NumVgprs: 152
; ScratchSize: 80
; MemoryBound: 1
	.text
	.p2align	2                               ; -- Begin function _Z45ncclDevFunc_Reduce_RING_SIMPLE_Prod_f32_0_0_4v
	.type	_Z45ncclDevFunc_Reduce_RING_SIMPLE_Prod_f32_0_0_4v,@function
_Z45ncclDevFunc_Reduce_RING_SIMPLE_Prod_f32_0_0_4v: ; @_Z45ncclDevFunc_Reduce_RING_SIMPLE_Prod_f32_0_0_4v
; %bb.0:
	s_waitcnt vmcnt(0) expcnt(0) lgkmcnt(0)
	s_mov_b32 s0, s33
	s_mov_b32 s33, s32
	s_or_saveexec_b32 s1, -1
	scratch_store_b32 off, v40, s33 offset:4 ; 4-byte Folded Spill
	s_mov_b32 exec_lo, s1
	v_writelane_b32 v40, s0, 8
	s_add_i32 s32, s32, 16
	scratch_store_b32 off, v41, s33         ; 4-byte Folded Spill
	v_writelane_b32 v40, s34, 0
	v_writelane_b32 v40, s35, 1
	;; [unrolled: 1-line block ×8, first 2 shown]
	s_cbranch_execnz .LBB7_13
; %bb.1:
	ds_load_b32 v0, v0
	s_waitcnt lgkmcnt(0)
	v_cmp_gt_i32_e32 vcc_lo, 1, v0
	s_cbranch_vccnz .LBB7_12
; %bb.2:
	v_and_b32_e32 v160, 0x3ff, v31
	s_mov_b32 s38, 0
	s_mov_b64 s[36:37], src_shared_base
.LBB7_3:                                ; =>This Inner Loop Header: Depth=1
	s_cbranch_execnz .LBB7_15
; %bb.4:                                ;   in Loop: Header=BB7_3 Depth=1
	ds_load_b32 v0, v0
	s_cmp_eq_u32 s38, 0
	s_cbranch_scc1 .LBB7_8
; %bb.5:                                ;   in Loop: Header=BB7_3 Depth=1
	s_cbranch_execnz .LBB7_19
; %bb.6:                                ;   in Loop: Header=BB7_3 Depth=1
	s_waitcnt lgkmcnt(0)
	ds_load_b32 v1, v0
	s_waitcnt lgkmcnt(0)
	v_xor_b32_e32 v1, v1, v0
	s_delay_alu instid0(VALU_DEP_1) | instskip(NEXT) | instid1(VALU_DEP_1)
	v_and_b32_e32 v1, 0xff0000, v1
	v_cmp_eq_u32_e32 vcc_lo, 0, v1
	s_cbranch_vccnz .LBB7_8
; %bb.7:                                ;   in Loop: Header=BB7_3 Depth=1
	s_waitcnt_vscnt null, 0x0
	s_barrier
	buffer_gl0_inv
	ds_load_b32 v0, v0
.LBB7_8:                                ;   in Loop: Header=BB7_3 Depth=1
	s_waitcnt lgkmcnt(0)
	v_lshrrev_b32_e32 v0, 11, v0
	s_mov_b32 s39, exec_lo
	s_delay_alu instid0(VALU_DEP_1) | instskip(NEXT) | instid1(VALU_DEP_1)
	v_and_b32_e32 v1, 0x1fe0, v0
	v_cmpx_lt_u32_e64 v160, v1
	s_cbranch_execz .LBB7_10
; %bb.9:                                ;   in Loop: Header=BB7_3 Depth=1
	v_dual_mov_b32 v161, v31 :: v_dual_mov_b32 v0, v160
	v_mov_b32_e32 v3, s37
	s_getpc_b64 s[0:1]
	s_add_u32 s0, s0, _ZN12_GLOBAL__N_17runRingIf8FuncProdIfE11ProtoSimpleILi1ELi1ELi0ELi4ELi0ELi0EELi0ELi4ELi0EEEviiP15ncclDevWorkColl@rel32@lo+4
	s_addc_u32 s1, s1, _ZN12_GLOBAL__N_17runRingIf8FuncProdIfE11ProtoSimpleILi1ELi1ELi0ELi4ELi0ELi0EELi0ELi4ELi0EEEviiP15ncclDevWorkColl@rel32@hi+12
	s_mov_b64 s[34:35], s[8:9]
	s_mov_b32 s36, s12
	s_swappc_b64 s[30:31], s[0:1]
	v_mov_b32_e32 v31, v161
	s_mov_b32 s12, s36
	s_mov_b64 s[8:9], s[34:35]
.LBB7_10:                               ;   in Loop: Header=BB7_3 Depth=1
	s_or_b32 exec_lo, exec_lo, s39
	s_cbranch_execnz .LBB7_17
; %bb.11:                               ;   in Loop: Header=BB7_3 Depth=1
	ds_load_b32 v0, v0
	s_add_i32 s38, s38, 1
	s_waitcnt lgkmcnt(0)
	v_cmp_lt_i32_e32 vcc_lo, s38, v0
	s_cbranch_vccnz .LBB7_3
.LBB7_12:
	scratch_load_b32 v41, off, s33          ; 4-byte Folded Reload
	v_readlane_b32 s30, v40, 6
	v_readlane_b32 s31, v40, 7
	v_readlane_b32 s39, v40, 5
	v_readlane_b32 s38, v40, 4
	v_readlane_b32 s37, v40, 3
	v_readlane_b32 s36, v40, 2
	v_readlane_b32 s35, v40, 1
	v_readlane_b32 s34, v40, 0
	v_readlane_b32 s0, v40, 8
	s_or_saveexec_b32 s1, -1
	scratch_load_b32 v40, off, s33 offset:4 ; 4-byte Folded Reload
	s_mov_b32 exec_lo, s1
	s_add_i32 s32, s32, -16
	s_mov_b32 s33, s0
	s_waitcnt vmcnt(0)
	s_setpc_b64 s[30:31]
.LBB7_13:
	s_trap 2
	s_sendmsg_rtn_b32 s0, sendmsg(MSG_RTN_GET_DOORBELL)
	s_mov_b32 ttmp2, m0
	s_waitcnt lgkmcnt(0)
	s_and_b32 s0, s0, 0x3ff
	s_delay_alu instid0(SALU_CYCLE_1) | instskip(NEXT) | instid1(SALU_CYCLE_1)
	s_bitset1_b32 s0, 10
	s_mov_b32 m0, s0
	s_sendmsg sendmsg(MSG_INTERRUPT)
	s_mov_b32 m0, ttmp2
.LBB7_14:                               ; =>This Inner Loop Header: Depth=1
	s_sethalt 5
	s_branch .LBB7_14
.LBB7_15:
	s_trap 2
	s_sendmsg_rtn_b32 s0, sendmsg(MSG_RTN_GET_DOORBELL)
	s_mov_b32 ttmp2, m0
	s_waitcnt lgkmcnt(0)
	s_and_b32 s0, s0, 0x3ff
	s_delay_alu instid0(SALU_CYCLE_1) | instskip(NEXT) | instid1(SALU_CYCLE_1)
	s_bitset1_b32 s0, 10
	s_mov_b32 m0, s0
	s_sendmsg sendmsg(MSG_INTERRUPT)
	s_mov_b32 m0, ttmp2
.LBB7_16:                               ; =>This Inner Loop Header: Depth=1
	s_sethalt 5
	s_branch .LBB7_16
.LBB7_17:
	s_trap 2
	s_sendmsg_rtn_b32 s0, sendmsg(MSG_RTN_GET_DOORBELL)
	s_mov_b32 ttmp2, m0
	s_waitcnt lgkmcnt(0)
	s_and_b32 s0, s0, 0x3ff
	s_delay_alu instid0(SALU_CYCLE_1) | instskip(NEXT) | instid1(SALU_CYCLE_1)
	s_bitset1_b32 s0, 10
	s_mov_b32 m0, s0
	s_sendmsg sendmsg(MSG_INTERRUPT)
	s_mov_b32 m0, ttmp2
.LBB7_18:                               ; =>This Inner Loop Header: Depth=1
	s_sethalt 5
	s_branch .LBB7_18
.LBB7_19:
	s_trap 2
	s_sendmsg_rtn_b32 s0, sendmsg(MSG_RTN_GET_DOORBELL)
	s_mov_b32 ttmp2, m0
	s_waitcnt lgkmcnt(0)
	s_and_b32 s0, s0, 0x3ff
	s_delay_alu instid0(SALU_CYCLE_1) | instskip(NEXT) | instid1(SALU_CYCLE_1)
	s_bitset1_b32 s0, 10
	s_mov_b32 m0, s0
	s_sendmsg sendmsg(MSG_INTERRUPT)
	s_mov_b32 m0, ttmp2
.LBB7_20:                               ; =>This Inner Loop Header: Depth=1
	s_sethalt 5
	s_branch .LBB7_20
.Lfunc_end7:
	.size	_Z45ncclDevFunc_Reduce_RING_SIMPLE_Prod_f32_0_0_4v, .Lfunc_end7-_Z45ncclDevFunc_Reduce_RING_SIMPLE_Prod_f32_0_0_4v
                                        ; -- End function
	.section	.AMDGPU.csdata,"",@progbits
; Function info:
; codeLenInByte = 684
; NumSgprs: 42
; NumVgprs: 162
; ScratchSize: 96
; MemoryBound: 0
	.text
	.p2alignl 7, 3214868480
	.fill 96, 4, 3214868480
	.type	__const.__assert_fail.fmt,@object ; @__const.__assert_fail.fmt
	.section	.rodata.str1.16,"aMS",@progbits,1
	.p2align	4, 0x0
__const.__assert_fail.fmt:
	.asciz	"%s:%u: %s: Device-side assertion `%s' failed.\n"
	.size	__const.__assert_fail.fmt, 47

	.type	.str.1,@object                  ; @.str.1
	.section	.rodata.str1.1,"aMS",@progbits,1
.str.1:
	.asciz	"2*(nrecv+nsend) <= nthreads"
	.size	.str.1, 28

	.type	.str.2,@object                  ; @.str.2
.str.2:
	.asciz	"/root/src/amdgpu-assembly/repos/ROCm__rccl/hipify/src/device/prims_simple.h"
	.size	.str.2, 76

	.type	__PRETTY_FUNCTION__._ZN10PrimitivesIf8FuncProdIfE12FanSymmetricILi1EELi0E11ProtoSimpleILi1ELi1ELi0ELi1ELi0ELi0EELi0ELb0ELi0ELi0ELi0EEC2EiiPKiS8_PKvPvmhhhP15ncclDevWorkCollP14ncclDevWorkP2pii,@object ; @__PRETTY_FUNCTION__._ZN10PrimitivesIf8FuncProdIfE12FanSymmetricILi1EELi0E11ProtoSimpleILi1ELi1ELi0ELi1ELi0ELi0EELi0ELb0ELi0ELi0ELi0EEC2EiiPKiS8_PKvPvmhhhP15ncclDevWorkCollP14ncclDevWorkP2pii
__PRETTY_FUNCTION__._ZN10PrimitivesIf8FuncProdIfE12FanSymmetricILi1EELi0E11ProtoSimpleILi1ELi1ELi0ELi1ELi0ELi0EELi0ELb0ELi0ELi0ELi0EEC2EiiPKiS8_PKvPvmhhhP15ncclDevWorkCollP14ncclDevWorkP2pii:
	.asciz	"Primitives<float, FuncProd<float>, FanSymmetric<1>, 0, ProtoSimple<1, 1, 0, 1>, 0>::Primitives(int, int, const int *, const int *, const void *, void *, uint64_t, uint8_t, uint8_t, uint8_t, struct ncclDevWorkColl *, struct ncclDevWorkP2p *, int, int) [T = float, RedOp = FuncProd<float>, Fan = FanSymmetric<1>, Direct = 0, Proto = ProtoSimple<1, 1, 0, 1>, P2p = 0, isNetOffload = false, Metadata = 0, Pipeline = 0, useAcc = 0]"
	.size	__PRETTY_FUNCTION__._ZN10PrimitivesIf8FuncProdIfE12FanSymmetricILi1EELi0E11ProtoSimpleILi1ELi1ELi0ELi1ELi0ELi0EELi0ELb0ELi0ELi0ELi0EEC2EiiPKiS8_PKvPvmhhhP15ncclDevWorkCollP14ncclDevWorkP2pii, 427

	.type	__PRETTY_FUNCTION__._ZN10PrimitivesIf8FuncProdIfE12FanSymmetricILi1EELi0E11ProtoSimpleILi1ELi1ELi0ELi2ELi0ELi0EELi0ELb0ELi0ELi0ELi0EEC2EiiPKiS8_PKvPvmhhhP15ncclDevWorkCollP14ncclDevWorkP2pii,@object ; @__PRETTY_FUNCTION__._ZN10PrimitivesIf8FuncProdIfE12FanSymmetricILi1EELi0E11ProtoSimpleILi1ELi1ELi0ELi2ELi0ELi0EELi0ELb0ELi0ELi0ELi0EEC2EiiPKiS8_PKvPvmhhhP15ncclDevWorkCollP14ncclDevWorkP2pii
__PRETTY_FUNCTION__._ZN10PrimitivesIf8FuncProdIfE12FanSymmetricILi1EELi0E11ProtoSimpleILi1ELi1ELi0ELi2ELi0ELi0EELi0ELb0ELi0ELi0ELi0EEC2EiiPKiS8_PKvPvmhhhP15ncclDevWorkCollP14ncclDevWorkP2pii:
	.asciz	"Primitives<float, FuncProd<float>, FanSymmetric<1>, 0, ProtoSimple<1, 1, 0, 2>, 0>::Primitives(int, int, const int *, const int *, const void *, void *, uint64_t, uint8_t, uint8_t, uint8_t, struct ncclDevWorkColl *, struct ncclDevWorkP2p *, int, int) [T = float, RedOp = FuncProd<float>, Fan = FanSymmetric<1>, Direct = 0, Proto = ProtoSimple<1, 1, 0, 2>, P2p = 0, isNetOffload = false, Metadata = 0, Pipeline = 0, useAcc = 0]"
	.size	__PRETTY_FUNCTION__._ZN10PrimitivesIf8FuncProdIfE12FanSymmetricILi1EELi0E11ProtoSimpleILi1ELi1ELi0ELi2ELi0ELi0EELi0ELb0ELi0ELi0ELi0EEC2EiiPKiS8_PKvPvmhhhP15ncclDevWorkCollP14ncclDevWorkP2pii, 427

	.type	__PRETTY_FUNCTION__._ZN10PrimitivesIf8FuncProdIfE12FanSymmetricILi1EELi0E11ProtoSimpleILi1ELi1ELi0ELi4ELi0ELi0EELi0ELb0ELi0ELi0ELi0EEC2EiiPKiS8_PKvPvmhhhP15ncclDevWorkCollP14ncclDevWorkP2pii,@object ; @__PRETTY_FUNCTION__._ZN10PrimitivesIf8FuncProdIfE12FanSymmetricILi1EELi0E11ProtoSimpleILi1ELi1ELi0ELi4ELi0ELi0EELi0ELb0ELi0ELi0ELi0EEC2EiiPKiS8_PKvPvmhhhP15ncclDevWorkCollP14ncclDevWorkP2pii
__PRETTY_FUNCTION__._ZN10PrimitivesIf8FuncProdIfE12FanSymmetricILi1EELi0E11ProtoSimpleILi1ELi1ELi0ELi4ELi0ELi0EELi0ELb0ELi0ELi0ELi0EEC2EiiPKiS8_PKvPvmhhhP15ncclDevWorkCollP14ncclDevWorkP2pii:
	.asciz	"Primitives<float, FuncProd<float>, FanSymmetric<1>, 0, ProtoSimple<1, 1, 0, 4>, 0>::Primitives(int, int, const int *, const int *, const void *, void *, uint64_t, uint8_t, uint8_t, uint8_t, struct ncclDevWorkColl *, struct ncclDevWorkP2p *, int, int) [T = float, RedOp = FuncProd<float>, Fan = FanSymmetric<1>, Direct = 0, Proto = ProtoSimple<1, 1, 0, 4>, P2p = 0, isNetOffload = false, Metadata = 0, Pipeline = 0, useAcc = 0]"
	.size	__PRETTY_FUNCTION__._ZN10PrimitivesIf8FuncProdIfE12FanSymmetricILi1EELi0E11ProtoSimpleILi1ELi1ELi0ELi4ELi0ELi0EELi0ELb0ELi0ELi0ELi0EEC2EiiPKiS8_PKvPvmhhhP15ncclDevWorkCollP14ncclDevWorkP2pii, 427

	.type	__hip_cuid_9ec2f140fc4e5a4c,@object ; @__hip_cuid_9ec2f140fc4e5a4c
	.section	.bss,"aw",@nobits
	.globl	__hip_cuid_9ec2f140fc4e5a4c
__hip_cuid_9ec2f140fc4e5a4c:
	.byte	0                               ; 0x0
	.size	__hip_cuid_9ec2f140fc4e5a4c, 1

	.ident	"AMD clang version 19.0.0git (https://github.com/RadeonOpenCompute/llvm-project roc-6.4.0 25133 c7fe45cf4b819c5991fe208aaa96edf142730f1d)"
	.section	".note.GNU-stack","",@progbits
	.addrsig
	.addrsig_sym _Z45ncclDevFunc_Reduce_RING_SIMPLE_Prod_f32_0_0_1v
	.addrsig_sym _Z45ncclDevFunc_Reduce_RING_SIMPLE_Prod_f32_0_0_2v
	.addrsig_sym _Z45ncclDevFunc_Reduce_RING_SIMPLE_Prod_f32_0_0_4v
	.addrsig_sym ncclShmem
	.addrsig_sym __hip_cuid_9ec2f140fc4e5a4c
	.amdgpu_metadata
---
amdhsa.kernels:  []
amdhsa.target:   amdgcn-amd-amdhsa--gfx1100
amdhsa.version:
  - 1
  - 2
...

	.end_amdgpu_metadata
